;; amdgpu-corpus repo=ggml-org/llama.cpp kind=compiled arch=gfx906 opt=O3
	.amdgcn_target "amdgcn-amd-amdhsa--gfx906"
	.amdhsa_code_object_version 6
	.section	.text._ZL13quantize_q8_1PKfPvlllllj15HIP_vector_typeIjLj3EE,"axG",@progbits,_ZL13quantize_q8_1PKfPvlllllj15HIP_vector_typeIjLj3EE,comdat
	.globl	_ZL13quantize_q8_1PKfPvlllllj15HIP_vector_typeIjLj3EE ; -- Begin function _ZL13quantize_q8_1PKfPvlllllj15HIP_vector_typeIjLj3EE
	.p2align	8
	.type	_ZL13quantize_q8_1PKfPvlllllj15HIP_vector_typeIjLj3EE,@function
_ZL13quantize_q8_1PKfPvlllllj15HIP_vector_typeIjLj3EE: ; @_ZL13quantize_q8_1PKfPvlllllj15HIP_vector_typeIjLj3EE
; %bb.0:
	s_load_dword s9, s[4:5], 0x54
	s_load_dwordx4 s[0:3], s[4:5], 0x30
	v_mov_b32_e32 v1, 0
	v_mov_b32_e32 v2, s6
	s_waitcnt lgkmcnt(0)
	s_and_b32 s2, s9, 0xffff
	v_mad_u64_u32 v[2:3], s[2:3], s2, v2, v[0:1]
	v_cmp_gt_i64_e32 vcc, s[0:1], v[2:3]
	s_and_saveexec_b64 s[2:3], vcc
	s_cbranch_execz .LBB0_7
; %bb.1:
	s_load_dwordx8 s[12:19], s[4:5], 0x0
	s_load_dwordx4 s[20:23], s[4:5], 0x20
	s_waitcnt lgkmcnt(0)
	v_cmp_gt_i64_e32 vcc, s[16:17], v[2:3]
	s_and_saveexec_b64 s[2:3], vcc
	s_cbranch_execz .LBB0_3
; %bb.2:
	s_load_dwordx2 s[10:11], s[4:5], 0x3c
	s_load_dword s6, s[4:5], 0x44
	v_lshlrev_b64 v[0:1], 2, v[2:3]
	s_waitcnt lgkmcnt(0)
	s_mul_hi_u32 s9, s10, s8
	s_add_i32 s9, s8, s9
	s_lshr_b32 s9, s9, s11
	s_mul_hi_u32 s10, s9, s6
	s_mul_i32 s6, s9, s6
	s_mul_i32 s11, s23, s9
	s_mul_hi_u32 s16, s22, s9
	s_sub_u32 s6, s8, s6
	s_subb_u32 s17, 0, s10
	s_add_i32 s11, s16, s11
	s_mul_i32 s10, s22, s9
	s_mul_i32 s9, s6, s21
	s_mul_hi_u32 s16, s6, s20
	s_add_i32 s9, s16, s9
	s_mul_i32 s17, s17, s20
	s_add_i32 s17, s9, s17
	s_mul_i32 s16, s6, s20
	s_mul_i32 s6, s19, s7
	s_mul_hi_u32 s9, s18, s7
	s_add_i32 s19, s9, s6
	s_lshl_b64 s[10:11], s[10:11], 2
	s_add_u32 s6, s12, s10
	s_addc_u32 s9, s13, s11
	s_lshl_b64 s[10:11], s[16:17], 2
	s_mul_i32 s18, s18, s7
	s_add_u32 s6, s6, s10
	s_addc_u32 s9, s9, s11
	s_lshl_b64 s[10:11], s[18:19], 2
	s_add_u32 s6, s6, s10
	s_addc_u32 s9, s9, s11
	v_mov_b32_e32 v4, s9
	v_add_co_u32_e32 v0, vcc, s6, v0
	v_addc_co_u32_e32 v1, vcc, v4, v1, vcc
	global_load_dword v1, v[0:1], off
.LBB0_3:
	s_or_b64 exec, exec, s[2:3]
	v_mbcnt_lo_u32_b32 v4, -1, 0
	v_mbcnt_hi_u32_b32 v4, -1, v4
	v_and_b32_e32 v5, 0x60, v4
	v_add_u32_e32 v5, 32, v5
	v_xor_b32_e32 v6, 16, v4
	v_cmp_lt_i32_e32 vcc, v6, v5
	v_cndmask_b32_e32 v6, v4, v6, vcc
	s_waitcnt vmcnt(0)
	v_and_b32_e32 v0, 0x7fffffff, v1
	v_lshlrev_b32_e32 v6, 2, v6
	ds_bpermute_b32 v0, v6, v0
	v_max_f32_e64 v7, |v1|, |v1|
	s_mov_b32 s9, 0x42fe0000
	ds_bpermute_b32 v6, v6, v1
	s_brev_b32 s6, -2
	s_waitcnt lgkmcnt(1)
	v_max_f32_e32 v0, v0, v0
	v_max_f32_e32 v0, v7, v0
	v_xor_b32_e32 v7, 8, v4
	v_cmp_lt_i32_e32 vcc, v7, v5
	v_cndmask_b32_e32 v7, v4, v7, vcc
	v_lshlrev_b32_e32 v7, 2, v7
	ds_bpermute_b32 v8, v7, v0
	s_waitcnt lgkmcnt(1)
	v_add_f32_e32 v6, v1, v6
	ds_bpermute_b32 v7, v7, v6
	s_waitcnt lgkmcnt(1)
	v_max_f32_e32 v8, v8, v8
	v_max_f32_e32 v0, v0, v8
	v_xor_b32_e32 v8, 4, v4
	v_cmp_lt_i32_e32 vcc, v8, v5
	v_cndmask_b32_e32 v8, v4, v8, vcc
	v_lshlrev_b32_e32 v8, 2, v8
	ds_bpermute_b32 v9, v8, v0
	s_waitcnt lgkmcnt(1)
	v_add_f32_e32 v6, v6, v7
	s_waitcnt lgkmcnt(0)
	v_max_f32_e32 v9, v9, v9
	v_max_f32_e32 v0, v0, v9
	v_xor_b32_e32 v9, 2, v4
	v_cmp_lt_i32_e32 vcc, v9, v5
	v_cndmask_b32_e32 v9, v4, v9, vcc
	v_lshlrev_b32_e32 v9, 2, v9
	ds_bpermute_b32 v10, v9, v0
	s_waitcnt lgkmcnt(0)
	v_max_f32_e32 v10, v10, v10
	v_max_f32_e32 v0, v0, v10
	v_xor_b32_e32 v10, 1, v4
	v_cmp_lt_i32_e32 vcc, v10, v5
	v_cndmask_b32_e32 v4, v4, v10, vcc
	v_lshlrev_b32_e32 v4, 2, v4
	ds_bpermute_b32 v5, v4, v0
	s_waitcnt lgkmcnt(0)
	v_max_f32_e32 v5, v5, v5
	v_max_f32_e32 v0, v0, v5
	v_div_scale_f32 v5, s[2:3], s9, s9, v0
	v_div_scale_f32 v10, vcc, v0, s9, v0
	v_rcp_f32_e32 v11, v5
	v_fma_f32 v7, -v5, v11, 1.0
	v_fmac_f32_e32 v11, v7, v11
	v_mul_f32_e32 v7, v10, v11
	v_fma_f32 v12, -v5, v7, v10
	v_fmac_f32_e32 v7, v12, v11
	v_fma_f32 v5, -v5, v7, v10
	v_div_fmas_f32 v7, v5, v11, v7
	ds_bpermute_b32 v5, v8, v6
	v_cmp_neq_f32_e32 vcc, 0, v0
	v_mov_b32_e32 v8, 0
	s_waitcnt lgkmcnt(0)
	v_add_f32_e32 v5, v6, v5
	ds_bpermute_b32 v6, v9, v5
	s_waitcnt lgkmcnt(0)
	v_add_f32_e32 v5, v5, v6
	ds_bpermute_b32 v6, v4, v5
	v_mov_b32_e32 v4, 0
	v_div_fixup_f32 v7, v7, s9, v0
	s_and_saveexec_b64 s[2:3], vcc
	s_cbranch_execz .LBB0_5
; %bb.4:
	v_div_scale_f32 v0, s[10:11], v7, v7, v1
	v_div_scale_f32 v8, vcc, v1, v7, v1
	v_rcp_f32_e32 v9, v0
	v_fma_f32 v10, -v0, v9, 1.0
	v_fmac_f32_e32 v9, v10, v9
	v_mul_f32_e32 v10, v8, v9
	v_fma_f32 v11, -v0, v10, v8
	v_fmac_f32_e32 v10, v11, v9
	v_fma_f32 v0, -v0, v10, v8
	v_div_fmas_f32 v0, v0, v9, v10
	v_div_fixup_f32 v0, v0, v7, v1
	v_trunc_f32_e32 v1, v0
	v_sub_f32_e32 v8, v0, v1
	v_cmp_ge_f32_e64 s[10:11], |v8|, 0.5
	v_cndmask_b32_e64 v8, 0, 1.0, s[10:11]
	v_bfi_b32 v0, s6, v8, v0
	v_add_f32_e32 v0, v1, v0
	v_cvt_i32_f32_e32 v8, v0
.LBB0_5:
	s_or_b64 exec, exec, s[2:3]
	s_load_dword s2, s[4:5], 0x38
	v_mov_b32_e32 v0, s0
	v_mov_b32_e32 v1, s15
	s_waitcnt lgkmcnt(0)
	s_mul_hi_u32 s3, s2, s8
	s_mul_i32 s2, s2, s8
	s_add_u32 s4, s2, s7
	s_addc_u32 s5, s3, 0
	v_mad_u64_u32 v[2:3], s[2:3], s4, v0, v[2:3]
	s_mul_i32 s1, s4, s1
	s_mul_i32 s5, s5, s0
	s_add_i32 s1, s1, s5
	v_add_u32_e32 v3, s1, v3
	v_mov_b32_e32 v0, s14
	v_alignbit_b32 v9, v3, v2, 5
	v_mad_u64_u32 v[0:1], s[0:1], v9, 36, v[0:1]
	v_lshrrev_b32_e32 v3, 5, v3
	v_mad_u64_u32 v[9:10], s[0:1], v3, 36, v[1:2]
	v_and_b32_e32 v3, 31, v2
	v_add_co_u32_e32 v10, vcc, v0, v3
	v_addc_co_u32_e32 v11, vcc, 0, v9, vcc
	v_cmp_eq_u64_e32 vcc, 0, v[3:4]
	v_mov_b32_e32 v1, v9
	global_store_byte v[10:11], v8, off offset:4
	s_and_b64 exec, exec, vcc
	s_cbranch_execz .LBB0_7
; %bb.6:
	v_add_f32_e32 v2, v5, v6
	v_cvt_f16_f32_sdwa v2, v2 dst_sel:WORD_1 dst_unused:UNUSED_PAD src0_sel:DWORD
	v_cvt_f16_f32_e32 v3, v7
	v_or_b32_e32 v2, v2, v3
	global_store_dword v[0:1], v2, off
.LBB0_7:
	s_endpgm
	.section	.rodata,"a",@progbits
	.p2align	6, 0x0
	.amdhsa_kernel _ZL13quantize_q8_1PKfPvlllllj15HIP_vector_typeIjLj3EE
		.amdhsa_group_segment_fixed_size 0
		.amdhsa_private_segment_fixed_size 0
		.amdhsa_kernarg_size 328
		.amdhsa_user_sgpr_count 6
		.amdhsa_user_sgpr_private_segment_buffer 1
		.amdhsa_user_sgpr_dispatch_ptr 0
		.amdhsa_user_sgpr_queue_ptr 0
		.amdhsa_user_sgpr_kernarg_segment_ptr 1
		.amdhsa_user_sgpr_dispatch_id 0
		.amdhsa_user_sgpr_flat_scratch_init 0
		.amdhsa_user_sgpr_private_segment_size 0
		.amdhsa_uses_dynamic_stack 0
		.amdhsa_system_sgpr_private_segment_wavefront_offset 0
		.amdhsa_system_sgpr_workgroup_id_x 1
		.amdhsa_system_sgpr_workgroup_id_y 1
		.amdhsa_system_sgpr_workgroup_id_z 1
		.amdhsa_system_sgpr_workgroup_info 0
		.amdhsa_system_vgpr_workitem_id 0
		.amdhsa_next_free_vgpr 13
		.amdhsa_next_free_sgpr 24
		.amdhsa_reserve_vcc 1
		.amdhsa_reserve_flat_scratch 0
		.amdhsa_float_round_mode_32 0
		.amdhsa_float_round_mode_16_64 0
		.amdhsa_float_denorm_mode_32 3
		.amdhsa_float_denorm_mode_16_64 3
		.amdhsa_dx10_clamp 1
		.amdhsa_ieee_mode 1
		.amdhsa_fp16_overflow 0
		.amdhsa_exception_fp_ieee_invalid_op 0
		.amdhsa_exception_fp_denorm_src 0
		.amdhsa_exception_fp_ieee_div_zero 0
		.amdhsa_exception_fp_ieee_overflow 0
		.amdhsa_exception_fp_ieee_underflow 0
		.amdhsa_exception_fp_ieee_inexact 0
		.amdhsa_exception_int_div_zero 0
	.end_amdhsa_kernel
	.section	.text._ZL13quantize_q8_1PKfPvlllllj15HIP_vector_typeIjLj3EE,"axG",@progbits,_ZL13quantize_q8_1PKfPvlllllj15HIP_vector_typeIjLj3EE,comdat
.Lfunc_end0:
	.size	_ZL13quantize_q8_1PKfPvlllllj15HIP_vector_typeIjLj3EE, .Lfunc_end0-_ZL13quantize_q8_1PKfPvlllllj15HIP_vector_typeIjLj3EE
                                        ; -- End function
	.set _ZL13quantize_q8_1PKfPvlllllj15HIP_vector_typeIjLj3EE.num_vgpr, 13
	.set _ZL13quantize_q8_1PKfPvlllllj15HIP_vector_typeIjLj3EE.num_agpr, 0
	.set _ZL13quantize_q8_1PKfPvlllllj15HIP_vector_typeIjLj3EE.numbered_sgpr, 24
	.set _ZL13quantize_q8_1PKfPvlllllj15HIP_vector_typeIjLj3EE.num_named_barrier, 0
	.set _ZL13quantize_q8_1PKfPvlllllj15HIP_vector_typeIjLj3EE.private_seg_size, 0
	.set _ZL13quantize_q8_1PKfPvlllllj15HIP_vector_typeIjLj3EE.uses_vcc, 1
	.set _ZL13quantize_q8_1PKfPvlllllj15HIP_vector_typeIjLj3EE.uses_flat_scratch, 0
	.set _ZL13quantize_q8_1PKfPvlllllj15HIP_vector_typeIjLj3EE.has_dyn_sized_stack, 0
	.set _ZL13quantize_q8_1PKfPvlllllj15HIP_vector_typeIjLj3EE.has_recursion, 0
	.set _ZL13quantize_q8_1PKfPvlllllj15HIP_vector_typeIjLj3EE.has_indirect_call, 0
	.section	.AMDGPU.csdata,"",@progbits
; Kernel info:
; codeLenInByte = 940
; TotalNumSgprs: 28
; NumVgprs: 13
; ScratchSize: 0
; MemoryBound: 0
; FloatMode: 240
; IeeeMode: 1
; LDSByteSize: 0 bytes/workgroup (compile time only)
; SGPRBlocks: 3
; VGPRBlocks: 3
; NumSGPRsForWavesPerEU: 28
; NumVGPRsForWavesPerEU: 13
; Occupancy: 10
; WaveLimiterHint : 0
; COMPUTE_PGM_RSRC2:SCRATCH_EN: 0
; COMPUTE_PGM_RSRC2:USER_SGPR: 6
; COMPUTE_PGM_RSRC2:TRAP_HANDLER: 0
; COMPUTE_PGM_RSRC2:TGID_X_EN: 1
; COMPUTE_PGM_RSRC2:TGID_Y_EN: 1
; COMPUTE_PGM_RSRC2:TGID_Z_EN: 1
; COMPUTE_PGM_RSRC2:TIDIG_COMP_CNT: 0
	.text
	.p2align	2                               ; -- Begin function __ockl_printf_append_string_n
	.type	__ockl_printf_append_string_n,@function
__ockl_printf_append_string_n:          ; @__ockl_printf_append_string_n
; %bb.0:
	s_waitcnt vmcnt(0) expcnt(0) lgkmcnt(0)
	s_getpc_b64 s[4:5]
	s_add_u32 s4, s4, __FUNCTION__._ZL18quantize_mmq_nvfp4PKfPKiPvlllllll@rel32@lo+4
	s_addc_u32 s5, s5, __FUNCTION__._ZL18quantize_mmq_nvfp4PKfPKiPvlllllll@rel32@hi+12
	v_mov_b32_e32 v3, v0
	s_mov_b64 s[6:7], 0
	s_cmp_lg_u64 s[4:5], 0
	v_mbcnt_lo_u32_b32 v2, -1, 0
	s_cbranch_scc0 .LBB1_87
; %bb.1:
	s_load_dwordx2 s[10:11], s[8:9], 0x50
	s_getpc_b64 s[4:5]
	s_add_u32 s4, s4, __FUNCTION__._ZL18quantize_mmq_nvfp4PKfPKiPvlllllll@rel32@lo+4
	s_addc_u32 s5, s5, __FUNCTION__._ZL18quantize_mmq_nvfp4PKfPKiPvlllllll@rel32@hi+12
	v_and_b32_e32 v0, -3, v3
	v_mov_b32_e32 v32, s5
	v_mov_b32_e32 v7, v1
	v_and_b32_e32 v37, 2, v3
	s_mov_b32 s20, 0
	v_mov_b32_e32 v30, 0
	v_mbcnt_hi_u32_b32 v38, -1, v2
	v_mov_b32_e32 v31, s4
	s_movk_i32 s21, 0x1e0
	v_mov_b32_e32 v12, 2
	v_mov_b32_e32 v13, 1
	;; [unrolled: 1-line block ×3, first 2 shown]
	s_branch .LBB1_3
.LBB1_2:                                ;   in Loop: Header=BB1_3 Depth=1
	s_or_b64 exec, exec, s[14:15]
	v_sub_co_u32_e32 v4, vcc, v4, v33
	v_subb_co_u32_e32 v5, vcc, v5, v34, vcc
	v_cmp_eq_u64_e32 vcc, 0, v[4:5]
	s_or_b64 s[6:7], vcc, s[6:7]
	v_add_co_u32_e32 v31, vcc, v31, v33
	v_addc_co_u32_e32 v32, vcc, v32, v34, vcc
	s_andn2_b64 exec, exec, s[6:7]
	s_cbranch_execz .LBB1_85
.LBB1_3:                                ; =>This Loop Header: Depth=1
                                        ;     Child Loop BB1_6 Depth 2
                                        ;     Child Loop BB1_14 Depth 2
	;; [unrolled: 1-line block ×11, first 2 shown]
	v_cmp_gt_u64_e32 vcc, 56, v[4:5]
	v_add_co_u32_e64 v16, s[4:5], 8, v31
	v_cndmask_b32_e32 v34, 0, v5, vcc
	v_cndmask_b32_e32 v33, 56, v4, vcc
	v_cmp_gt_u64_e32 vcc, 8, v[4:5]
	v_addc_co_u32_e64 v17, s[4:5], 0, v32, s[4:5]
	s_and_saveexec_b64 s[4:5], vcc
	s_xor_b64 s[4:5], exec, s[4:5]
	s_cbranch_execz .LBB1_9
; %bb.4:                                ;   in Loop: Header=BB1_3 Depth=1
	v_mov_b32_e32 v8, 0
	v_cmp_ne_u64_e32 vcc, 0, v[4:5]
	v_mov_b32_e32 v9, 0
	s_and_saveexec_b64 s[12:13], vcc
	s_cbranch_execz .LBB1_8
; %bb.5:                                ;   in Loop: Header=BB1_3 Depth=1
	v_lshlrev_b64 v[10:11], 3, v[33:34]
	v_mov_b32_e32 v8, 0
	v_mov_b32_e32 v14, v31
	s_mov_b64 s[14:15], 0
	v_mov_b32_e32 v9, 0
	v_mov_b32_e32 v15, v32
	s_mov_b64 s[16:17], 0
.LBB1_6:                                ;   Parent Loop BB1_3 Depth=1
                                        ; =>  This Inner Loop Header: Depth=2
	global_load_ubyte v0, v[14:15], off
	v_mov_b32_e32 v17, s20
	v_add_co_u32_e32 v14, vcc, 1, v14
	v_addc_co_u32_e32 v15, vcc, 0, v15, vcc
	s_waitcnt vmcnt(0)
	v_and_b32_e32 v16, 0xffff, v0
	v_lshlrev_b64 v[16:17], s16, v[16:17]
	s_add_u32 s16, s16, 8
	s_addc_u32 s17, s17, 0
	v_cmp_eq_u32_e32 vcc, s16, v10
	v_or_b32_e32 v9, v17, v9
	s_or_b64 s[14:15], vcc, s[14:15]
	v_or_b32_e32 v8, v16, v8
	s_andn2_b64 exec, exec, s[14:15]
	s_cbranch_execnz .LBB1_6
; %bb.7:                                ;   in Loop: Header=BB1_3 Depth=1
	s_or_b64 exec, exec, s[14:15]
.LBB1_8:                                ;   in Loop: Header=BB1_3 Depth=1
	s_or_b64 exec, exec, s[12:13]
	v_mov_b32_e32 v16, v31
	v_mov_b32_e32 v17, v32
.LBB1_9:                                ;   in Loop: Header=BB1_3 Depth=1
	s_or_saveexec_b64 s[4:5], s[4:5]
	v_mov_b32_e32 v0, 0
	s_xor_b64 exec, exec, s[4:5]
	s_cbranch_execz .LBB1_11
; %bb.10:                               ;   in Loop: Header=BB1_3 Depth=1
	global_load_dwordx2 v[8:9], v[31:32], off
	v_add_u32_e32 v0, -8, v33
.LBB1_11:                               ;   in Loop: Header=BB1_3 Depth=1
	s_or_b64 exec, exec, s[4:5]
	v_add_co_u32_e64 v10, s[4:5], 8, v16
	v_cmp_gt_u32_e32 vcc, 8, v0
	v_addc_co_u32_e64 v11, s[4:5], 0, v17, s[4:5]
                                        ; implicit-def: $vgpr14_vgpr15
	s_and_saveexec_b64 s[4:5], vcc
	s_xor_b64 s[4:5], exec, s[4:5]
	s_cbranch_execz .LBB1_17
; %bb.12:                               ;   in Loop: Header=BB1_3 Depth=1
	v_mov_b32_e32 v14, 0
	v_mov_b32_e32 v15, 0
	v_cmp_ne_u32_e32 vcc, 0, v0
	s_and_saveexec_b64 s[12:13], vcc
	s_cbranch_execz .LBB1_16
; %bb.13:                               ;   in Loop: Header=BB1_3 Depth=1
	v_mov_b32_e32 v14, 0
	s_mov_b64 s[14:15], 0
	v_mov_b32_e32 v15, 0
	s_mov_b64 s[16:17], 0
	s_mov_b64 s[18:19], 0
.LBB1_14:                               ;   Parent Loop BB1_3 Depth=1
                                        ; =>  This Inner Loop Header: Depth=2
	v_mov_b32_e32 v11, s19
	v_add_co_u32_e32 v10, vcc, s18, v16
	v_addc_co_u32_e32 v11, vcc, v17, v11, vcc
	global_load_ubyte v10, v[10:11], off
	s_add_u32 s18, s18, 1
	v_mov_b32_e32 v11, s20
	s_addc_u32 s19, s19, 0
	v_cmp_eq_u32_e32 vcc, s18, v0
	s_waitcnt vmcnt(0)
	v_and_b32_e32 v10, 0xffff, v10
	v_lshlrev_b64 v[10:11], s16, v[10:11]
	s_add_u32 s16, s16, 8
	s_addc_u32 s17, s17, 0
	v_or_b32_e32 v15, v11, v15
	s_or_b64 s[14:15], vcc, s[14:15]
	v_or_b32_e32 v14, v10, v14
	s_andn2_b64 exec, exec, s[14:15]
	s_cbranch_execnz .LBB1_14
; %bb.15:                               ;   in Loop: Header=BB1_3 Depth=1
	s_or_b64 exec, exec, s[14:15]
.LBB1_16:                               ;   in Loop: Header=BB1_3 Depth=1
	s_or_b64 exec, exec, s[12:13]
	v_mov_b32_e32 v10, v16
	v_mov_b32_e32 v11, v17
                                        ; implicit-def: $vgpr0
.LBB1_17:                               ;   in Loop: Header=BB1_3 Depth=1
	s_or_saveexec_b64 s[4:5], s[4:5]
	v_mov_b32_e32 v18, 0
	s_xor_b64 exec, exec, s[4:5]
	s_cbranch_execz .LBB1_19
; %bb.18:                               ;   in Loop: Header=BB1_3 Depth=1
	global_load_dwordx2 v[14:15], v[16:17], off
	v_add_u32_e32 v18, -8, v0
.LBB1_19:                               ;   in Loop: Header=BB1_3 Depth=1
	s_or_b64 exec, exec, s[4:5]
	v_add_co_u32_e64 v20, s[4:5], 8, v10
	v_cmp_gt_u32_e32 vcc, 8, v18
	v_addc_co_u32_e64 v21, s[4:5], 0, v11, s[4:5]
	s_and_saveexec_b64 s[4:5], vcc
	s_xor_b64 s[4:5], exec, s[4:5]
	s_cbranch_execz .LBB1_25
; %bb.20:                               ;   in Loop: Header=BB1_3 Depth=1
	v_mov_b32_e32 v16, 0
	v_mov_b32_e32 v17, 0
	v_cmp_ne_u32_e32 vcc, 0, v18
	s_and_saveexec_b64 s[12:13], vcc
	s_cbranch_execz .LBB1_24
; %bb.21:                               ;   in Loop: Header=BB1_3 Depth=1
	v_mov_b32_e32 v16, 0
	s_mov_b64 s[14:15], 0
	v_mov_b32_e32 v17, 0
	s_mov_b64 s[16:17], 0
	s_mov_b64 s[18:19], 0
.LBB1_22:                               ;   Parent Loop BB1_3 Depth=1
                                        ; =>  This Inner Loop Header: Depth=2
	v_mov_b32_e32 v0, s19
	v_add_co_u32_e32 v19, vcc, s18, v10
	v_addc_co_u32_e32 v20, vcc, v11, v0, vcc
	global_load_ubyte v0, v[19:20], off
	s_add_u32 s18, s18, 1
	v_mov_b32_e32 v20, s20
	s_addc_u32 s19, s19, 0
	v_cmp_eq_u32_e32 vcc, s18, v18
	s_waitcnt vmcnt(0)
	v_and_b32_e32 v19, 0xffff, v0
	v_lshlrev_b64 v[19:20], s16, v[19:20]
	s_add_u32 s16, s16, 8
	s_addc_u32 s17, s17, 0
	v_or_b32_e32 v17, v20, v17
	s_or_b64 s[14:15], vcc, s[14:15]
	v_or_b32_e32 v16, v19, v16
	s_andn2_b64 exec, exec, s[14:15]
	s_cbranch_execnz .LBB1_22
; %bb.23:                               ;   in Loop: Header=BB1_3 Depth=1
	s_or_b64 exec, exec, s[14:15]
.LBB1_24:                               ;   in Loop: Header=BB1_3 Depth=1
	s_or_b64 exec, exec, s[12:13]
	v_mov_b32_e32 v21, v11
	v_mov_b32_e32 v20, v10
                                        ; implicit-def: $vgpr18
.LBB1_25:                               ;   in Loop: Header=BB1_3 Depth=1
	s_or_saveexec_b64 s[4:5], s[4:5]
	v_mov_b32_e32 v0, 0
	s_xor_b64 exec, exec, s[4:5]
	s_cbranch_execz .LBB1_27
; %bb.26:                               ;   in Loop: Header=BB1_3 Depth=1
	global_load_dwordx2 v[16:17], v[10:11], off
	v_add_u32_e32 v0, -8, v18
.LBB1_27:                               ;   in Loop: Header=BB1_3 Depth=1
	s_or_b64 exec, exec, s[4:5]
	v_add_co_u32_e64 v10, s[4:5], 8, v20
	v_cmp_gt_u32_e32 vcc, 8, v0
	v_addc_co_u32_e64 v11, s[4:5], 0, v21, s[4:5]
                                        ; implicit-def: $vgpr18_vgpr19
	s_and_saveexec_b64 s[4:5], vcc
	s_xor_b64 s[4:5], exec, s[4:5]
	s_cbranch_execz .LBB1_33
; %bb.28:                               ;   in Loop: Header=BB1_3 Depth=1
	v_mov_b32_e32 v18, 0
	v_mov_b32_e32 v19, 0
	v_cmp_ne_u32_e32 vcc, 0, v0
	s_and_saveexec_b64 s[12:13], vcc
	s_cbranch_execz .LBB1_32
; %bb.29:                               ;   in Loop: Header=BB1_3 Depth=1
	v_mov_b32_e32 v18, 0
	s_mov_b64 s[14:15], 0
	v_mov_b32_e32 v19, 0
	s_mov_b64 s[16:17], 0
	s_mov_b64 s[18:19], 0
.LBB1_30:                               ;   Parent Loop BB1_3 Depth=1
                                        ; =>  This Inner Loop Header: Depth=2
	v_mov_b32_e32 v11, s19
	v_add_co_u32_e32 v10, vcc, s18, v20
	v_addc_co_u32_e32 v11, vcc, v21, v11, vcc
	global_load_ubyte v10, v[10:11], off
	s_add_u32 s18, s18, 1
	v_mov_b32_e32 v11, s20
	s_addc_u32 s19, s19, 0
	v_cmp_eq_u32_e32 vcc, s18, v0
	s_waitcnt vmcnt(0)
	v_and_b32_e32 v10, 0xffff, v10
	v_lshlrev_b64 v[10:11], s16, v[10:11]
	s_add_u32 s16, s16, 8
	s_addc_u32 s17, s17, 0
	v_or_b32_e32 v19, v11, v19
	s_or_b64 s[14:15], vcc, s[14:15]
	v_or_b32_e32 v18, v10, v18
	s_andn2_b64 exec, exec, s[14:15]
	s_cbranch_execnz .LBB1_30
; %bb.31:                               ;   in Loop: Header=BB1_3 Depth=1
	s_or_b64 exec, exec, s[14:15]
.LBB1_32:                               ;   in Loop: Header=BB1_3 Depth=1
	s_or_b64 exec, exec, s[12:13]
	v_mov_b32_e32 v10, v20
	v_mov_b32_e32 v11, v21
                                        ; implicit-def: $vgpr0
.LBB1_33:                               ;   in Loop: Header=BB1_3 Depth=1
	s_or_saveexec_b64 s[4:5], s[4:5]
	v_mov_b32_e32 v22, 0
	s_xor_b64 exec, exec, s[4:5]
	s_cbranch_execz .LBB1_35
; %bb.34:                               ;   in Loop: Header=BB1_3 Depth=1
	global_load_dwordx2 v[18:19], v[20:21], off
	v_add_u32_e32 v22, -8, v0
.LBB1_35:                               ;   in Loop: Header=BB1_3 Depth=1
	s_or_b64 exec, exec, s[4:5]
	v_add_co_u32_e64 v24, s[4:5], 8, v10
	v_cmp_gt_u32_e32 vcc, 8, v22
	v_addc_co_u32_e64 v25, s[4:5], 0, v11, s[4:5]
	s_and_saveexec_b64 s[4:5], vcc
	s_xor_b64 s[4:5], exec, s[4:5]
	s_cbranch_execz .LBB1_41
; %bb.36:                               ;   in Loop: Header=BB1_3 Depth=1
	v_mov_b32_e32 v20, 0
	v_mov_b32_e32 v21, 0
	v_cmp_ne_u32_e32 vcc, 0, v22
	s_and_saveexec_b64 s[12:13], vcc
	s_cbranch_execz .LBB1_40
; %bb.37:                               ;   in Loop: Header=BB1_3 Depth=1
	v_mov_b32_e32 v20, 0
	s_mov_b64 s[14:15], 0
	v_mov_b32_e32 v21, 0
	s_mov_b64 s[16:17], 0
	s_mov_b64 s[18:19], 0
.LBB1_38:                               ;   Parent Loop BB1_3 Depth=1
                                        ; =>  This Inner Loop Header: Depth=2
	v_mov_b32_e32 v0, s19
	v_add_co_u32_e32 v23, vcc, s18, v10
	v_addc_co_u32_e32 v24, vcc, v11, v0, vcc
	global_load_ubyte v0, v[23:24], off
	s_add_u32 s18, s18, 1
	v_mov_b32_e32 v24, s20
	s_addc_u32 s19, s19, 0
	v_cmp_eq_u32_e32 vcc, s18, v22
	s_waitcnt vmcnt(0)
	v_and_b32_e32 v23, 0xffff, v0
	v_lshlrev_b64 v[23:24], s16, v[23:24]
	s_add_u32 s16, s16, 8
	s_addc_u32 s17, s17, 0
	v_or_b32_e32 v21, v24, v21
	s_or_b64 s[14:15], vcc, s[14:15]
	v_or_b32_e32 v20, v23, v20
	s_andn2_b64 exec, exec, s[14:15]
	s_cbranch_execnz .LBB1_38
; %bb.39:                               ;   in Loop: Header=BB1_3 Depth=1
	s_or_b64 exec, exec, s[14:15]
.LBB1_40:                               ;   in Loop: Header=BB1_3 Depth=1
	s_or_b64 exec, exec, s[12:13]
	v_mov_b32_e32 v25, v11
	v_mov_b32_e32 v24, v10
                                        ; implicit-def: $vgpr22
.LBB1_41:                               ;   in Loop: Header=BB1_3 Depth=1
	s_or_saveexec_b64 s[4:5], s[4:5]
	v_mov_b32_e32 v0, 0
	s_xor_b64 exec, exec, s[4:5]
	s_cbranch_execz .LBB1_43
; %bb.42:                               ;   in Loop: Header=BB1_3 Depth=1
	global_load_dwordx2 v[20:21], v[10:11], off
	v_add_u32_e32 v0, -8, v22
.LBB1_43:                               ;   in Loop: Header=BB1_3 Depth=1
	s_or_b64 exec, exec, s[4:5]
	v_add_co_u32_e64 v10, s[4:5], 8, v24
	v_cmp_gt_u32_e32 vcc, 8, v0
	v_addc_co_u32_e64 v11, s[4:5], 0, v25, s[4:5]
                                        ; implicit-def: $vgpr22_vgpr23
	s_and_saveexec_b64 s[4:5], vcc
	s_xor_b64 s[4:5], exec, s[4:5]
	s_cbranch_execz .LBB1_49
; %bb.44:                               ;   in Loop: Header=BB1_3 Depth=1
	v_mov_b32_e32 v22, 0
	v_mov_b32_e32 v23, 0
	v_cmp_ne_u32_e32 vcc, 0, v0
	s_and_saveexec_b64 s[12:13], vcc
	s_cbranch_execz .LBB1_48
; %bb.45:                               ;   in Loop: Header=BB1_3 Depth=1
	v_mov_b32_e32 v22, 0
	s_mov_b64 s[14:15], 0
	v_mov_b32_e32 v23, 0
	s_mov_b64 s[16:17], 0
	s_mov_b64 s[18:19], 0
.LBB1_46:                               ;   Parent Loop BB1_3 Depth=1
                                        ; =>  This Inner Loop Header: Depth=2
	v_mov_b32_e32 v11, s19
	v_add_co_u32_e32 v10, vcc, s18, v24
	v_addc_co_u32_e32 v11, vcc, v25, v11, vcc
	global_load_ubyte v10, v[10:11], off
	s_add_u32 s18, s18, 1
	v_mov_b32_e32 v11, s20
	s_addc_u32 s19, s19, 0
	v_cmp_eq_u32_e32 vcc, s18, v0
	s_waitcnt vmcnt(0)
	v_and_b32_e32 v10, 0xffff, v10
	v_lshlrev_b64 v[10:11], s16, v[10:11]
	s_add_u32 s16, s16, 8
	s_addc_u32 s17, s17, 0
	v_or_b32_e32 v23, v11, v23
	s_or_b64 s[14:15], vcc, s[14:15]
	v_or_b32_e32 v22, v10, v22
	s_andn2_b64 exec, exec, s[14:15]
	s_cbranch_execnz .LBB1_46
; %bb.47:                               ;   in Loop: Header=BB1_3 Depth=1
	s_or_b64 exec, exec, s[14:15]
.LBB1_48:                               ;   in Loop: Header=BB1_3 Depth=1
	s_or_b64 exec, exec, s[12:13]
	v_mov_b32_e32 v10, v24
	v_mov_b32_e32 v11, v25
                                        ; implicit-def: $vgpr0
.LBB1_49:                               ;   in Loop: Header=BB1_3 Depth=1
	s_or_saveexec_b64 s[4:5], s[4:5]
	v_mov_b32_e32 v26, 0
	s_xor_b64 exec, exec, s[4:5]
	s_cbranch_execz .LBB1_51
; %bb.50:                               ;   in Loop: Header=BB1_3 Depth=1
	global_load_dwordx2 v[22:23], v[24:25], off
	v_add_u32_e32 v26, -8, v0
.LBB1_51:                               ;   in Loop: Header=BB1_3 Depth=1
	s_or_b64 exec, exec, s[4:5]
	v_cmp_gt_u32_e32 vcc, 8, v26
	s_and_saveexec_b64 s[4:5], vcc
	s_xor_b64 s[4:5], exec, s[4:5]
	s_cbranch_execz .LBB1_57
; %bb.52:                               ;   in Loop: Header=BB1_3 Depth=1
	v_mov_b32_e32 v24, 0
	v_mov_b32_e32 v25, 0
	v_cmp_ne_u32_e32 vcc, 0, v26
	s_and_saveexec_b64 s[12:13], vcc
	s_cbranch_execz .LBB1_56
; %bb.53:                               ;   in Loop: Header=BB1_3 Depth=1
	v_mov_b32_e32 v24, 0
	s_mov_b64 s[14:15], 0
	v_mov_b32_e32 v25, 0
	s_mov_b64 s[16:17], 0
.LBB1_54:                               ;   Parent Loop BB1_3 Depth=1
                                        ; =>  This Inner Loop Header: Depth=2
	global_load_ubyte v0, v[10:11], off
	v_mov_b32_e32 v28, s20
	v_add_co_u32_e32 v10, vcc, 1, v10
	v_add_u32_e32 v26, -1, v26
	v_addc_co_u32_e32 v11, vcc, 0, v11, vcc
	v_cmp_eq_u32_e32 vcc, 0, v26
	s_waitcnt vmcnt(0)
	v_and_b32_e32 v27, 0xffff, v0
	v_lshlrev_b64 v[27:28], s16, v[27:28]
	s_add_u32 s16, s16, 8
	s_addc_u32 s17, s17, 0
	v_or_b32_e32 v25, v28, v25
	s_or_b64 s[14:15], vcc, s[14:15]
	v_or_b32_e32 v24, v27, v24
	s_andn2_b64 exec, exec, s[14:15]
	s_cbranch_execnz .LBB1_54
; %bb.55:                               ;   in Loop: Header=BB1_3 Depth=1
	s_or_b64 exec, exec, s[14:15]
.LBB1_56:                               ;   in Loop: Header=BB1_3 Depth=1
	s_or_b64 exec, exec, s[12:13]
                                        ; implicit-def: $vgpr10_vgpr11
.LBB1_57:                               ;   in Loop: Header=BB1_3 Depth=1
	s_andn2_saveexec_b64 s[4:5], s[4:5]
	s_cbranch_execz .LBB1_59
; %bb.58:                               ;   in Loop: Header=BB1_3 Depth=1
	global_load_dwordx2 v[24:25], v[10:11], off
.LBB1_59:                               ;   in Loop: Header=BB1_3 Depth=1
	s_or_b64 exec, exec, s[4:5]
	v_readfirstlane_b32 s4, v38
	v_mov_b32_e32 v10, 0
	v_mov_b32_e32 v11, 0
	v_cmp_eq_u32_e64 s[4:5], s4, v38
	s_and_saveexec_b64 s[12:13], s[4:5]
	s_cbranch_execz .LBB1_65
; %bb.60:                               ;   in Loop: Header=BB1_3 Depth=1
	s_waitcnt lgkmcnt(0)
	global_load_dwordx2 v[28:29], v30, s[10:11] offset:24 glc
	s_waitcnt vmcnt(0)
	buffer_wbinvl1_vol
	global_load_dwordx2 v[10:11], v30, s[10:11] offset:40
	global_load_dwordx2 v[26:27], v30, s[10:11]
	s_waitcnt vmcnt(1)
	v_and_b32_e32 v0, v10, v28
	v_and_b32_e32 v10, v11, v29
	v_mul_lo_u32 v10, v10, 24
	v_mul_hi_u32 v11, v0, 24
	v_mul_lo_u32 v0, v0, 24
	v_add_u32_e32 v11, v11, v10
	s_waitcnt vmcnt(0)
	v_add_co_u32_e32 v10, vcc, v26, v0
	v_addc_co_u32_e32 v11, vcc, v27, v11, vcc
	global_load_dwordx2 v[26:27], v[10:11], off glc
	s_waitcnt vmcnt(0)
	global_atomic_cmpswap_x2 v[10:11], v30, v[26:29], s[10:11] offset:24 glc
	s_waitcnt vmcnt(0)
	buffer_wbinvl1_vol
	v_cmp_ne_u64_e32 vcc, v[10:11], v[28:29]
	s_and_saveexec_b64 s[14:15], vcc
	s_cbranch_execz .LBB1_64
; %bb.61:                               ;   in Loop: Header=BB1_3 Depth=1
	s_mov_b64 s[16:17], 0
.LBB1_62:                               ;   Parent Loop BB1_3 Depth=1
                                        ; =>  This Inner Loop Header: Depth=2
	s_sleep 1
	global_load_dwordx2 v[26:27], v30, s[10:11] offset:40
	global_load_dwordx2 v[35:36], v30, s[10:11]
	v_mov_b32_e32 v29, v11
	v_mov_b32_e32 v28, v10
	s_waitcnt vmcnt(1)
	v_and_b32_e32 v0, v26, v28
	s_waitcnt vmcnt(0)
	v_mad_u64_u32 v[10:11], s[18:19], v0, 24, v[35:36]
	v_and_b32_e32 v26, v27, v29
	v_mov_b32_e32 v0, v11
	v_mad_u64_u32 v[26:27], s[18:19], v26, 24, v[0:1]
	v_mov_b32_e32 v11, v26
	global_load_dwordx2 v[26:27], v[10:11], off glc
	s_waitcnt vmcnt(0)
	global_atomic_cmpswap_x2 v[10:11], v30, v[26:29], s[10:11] offset:24 glc
	s_waitcnt vmcnt(0)
	buffer_wbinvl1_vol
	v_cmp_eq_u64_e32 vcc, v[10:11], v[28:29]
	s_or_b64 s[16:17], vcc, s[16:17]
	s_andn2_b64 exec, exec, s[16:17]
	s_cbranch_execnz .LBB1_62
; %bb.63:                               ;   in Loop: Header=BB1_3 Depth=1
	s_or_b64 exec, exec, s[16:17]
.LBB1_64:                               ;   in Loop: Header=BB1_3 Depth=1
	s_or_b64 exec, exec, s[14:15]
.LBB1_65:                               ;   in Loop: Header=BB1_3 Depth=1
	s_or_b64 exec, exec, s[12:13]
	s_waitcnt lgkmcnt(0)
	global_load_dwordx2 v[35:36], v30, s[10:11] offset:40
	global_load_dwordx4 v[26:29], v30, s[10:11]
	v_readfirstlane_b32 s13, v11
	v_readfirstlane_b32 s12, v10
	s_mov_b64 s[14:15], exec
	s_waitcnt vmcnt(1)
	v_readfirstlane_b32 s16, v35
	v_readfirstlane_b32 s17, v36
	s_and_b64 s[16:17], s[16:17], s[12:13]
	s_mul_i32 s18, s17, 24
	s_mul_hi_u32 s19, s16, 24
	s_mul_i32 s22, s16, 24
	s_add_i32 s18, s19, s18
	v_mov_b32_e32 v0, s18
	s_waitcnt vmcnt(0)
	v_add_co_u32_e32 v35, vcc, s22, v26
	v_addc_co_u32_e32 v36, vcc, v27, v0, vcc
	s_and_saveexec_b64 s[18:19], s[4:5]
	s_cbranch_execz .LBB1_67
; %bb.66:                               ;   in Loop: Header=BB1_3 Depth=1
	v_mov_b32_e32 v10, s14
	v_mov_b32_e32 v11, s15
	global_store_dwordx4 v[35:36], v[10:13], off offset:8
.LBB1_67:                               ;   in Loop: Header=BB1_3 Depth=1
	s_or_b64 exec, exec, s[18:19]
	s_lshl_b64 s[14:15], s[16:17], 12
	v_mov_b32_e32 v10, s15
	v_add_co_u32_e32 v0, vcc, s14, v28
	v_addc_co_u32_e32 v28, vcc, v29, v10, vcc
	v_cmp_gt_u64_e32 vcc, 57, v[4:5]
	v_and_b32_e32 v6, 0xffffff1f, v6
	v_cndmask_b32_e32 v10, 0, v37, vcc
	v_lshl_add_u32 v11, v33, 2, 28
	v_or_b32_e32 v6, v6, v10
	v_and_or_b32 v6, v11, s21, v6
	v_lshlrev_b32_e32 v39, 6, v38
	v_readfirstlane_b32 s14, v0
	v_readfirstlane_b32 s15, v28
	s_nop 4
	global_store_dwordx4 v39, v[6:9], s[14:15]
	global_store_dwordx4 v39, v[14:17], s[14:15] offset:16
	global_store_dwordx4 v39, v[18:21], s[14:15] offset:32
	;; [unrolled: 1-line block ×3, first 2 shown]
	s_and_saveexec_b64 s[14:15], s[4:5]
	s_cbranch_execz .LBB1_75
; %bb.68:                               ;   in Loop: Header=BB1_3 Depth=1
	global_load_dwordx2 v[16:17], v30, s[10:11] offset:32 glc
	global_load_dwordx2 v[6:7], v30, s[10:11] offset:40
	v_mov_b32_e32 v14, s12
	v_mov_b32_e32 v15, s13
	s_waitcnt vmcnt(0)
	v_readfirstlane_b32 s16, v6
	v_readfirstlane_b32 s17, v7
	s_and_b64 s[16:17], s[16:17], s[12:13]
	s_mul_i32 s17, s17, 24
	s_mul_hi_u32 s18, s16, 24
	s_mul_i32 s16, s16, 24
	s_add_i32 s17, s18, s17
	v_mov_b32_e32 v6, s17
	v_add_co_u32_e32 v10, vcc, s16, v26
	v_addc_co_u32_e32 v11, vcc, v27, v6, vcc
	global_store_dwordx2 v[10:11], v[16:17], off
	s_waitcnt vmcnt(0)
	global_atomic_cmpswap_x2 v[8:9], v30, v[14:17], s[10:11] offset:32 glc
	s_waitcnt vmcnt(0)
	v_cmp_ne_u64_e32 vcc, v[8:9], v[16:17]
	s_and_saveexec_b64 s[16:17], vcc
	s_cbranch_execz .LBB1_71
; %bb.69:                               ;   in Loop: Header=BB1_3 Depth=1
	s_mov_b64 s[18:19], 0
.LBB1_70:                               ;   Parent Loop BB1_3 Depth=1
                                        ; =>  This Inner Loop Header: Depth=2
	s_sleep 1
	global_store_dwordx2 v[10:11], v[8:9], off
	v_mov_b32_e32 v6, s12
	v_mov_b32_e32 v7, s13
	s_waitcnt vmcnt(0)
	global_atomic_cmpswap_x2 v[6:7], v30, v[6:9], s[10:11] offset:32 glc
	s_waitcnt vmcnt(0)
	v_cmp_eq_u64_e32 vcc, v[6:7], v[8:9]
	v_mov_b32_e32 v9, v7
	s_or_b64 s[18:19], vcc, s[18:19]
	v_mov_b32_e32 v8, v6
	s_andn2_b64 exec, exec, s[18:19]
	s_cbranch_execnz .LBB1_70
.LBB1_71:                               ;   in Loop: Header=BB1_3 Depth=1
	s_or_b64 exec, exec, s[16:17]
	global_load_dwordx2 v[6:7], v30, s[10:11] offset:16
	s_mov_b64 s[18:19], exec
	v_mbcnt_lo_u32_b32 v8, s18, 0
	v_mbcnt_hi_u32_b32 v8, s19, v8
	v_cmp_eq_u32_e32 vcc, 0, v8
	s_and_saveexec_b64 s[16:17], vcc
	s_cbranch_execz .LBB1_73
; %bb.72:                               ;   in Loop: Header=BB1_3 Depth=1
	s_bcnt1_i32_b64 s18, s[18:19]
	v_mov_b32_e32 v29, s18
	s_waitcnt vmcnt(0)
	global_atomic_add_x2 v[6:7], v[29:30], off offset:8
.LBB1_73:                               ;   in Loop: Header=BB1_3 Depth=1
	s_or_b64 exec, exec, s[16:17]
	s_waitcnt vmcnt(0)
	global_load_dwordx2 v[8:9], v[6:7], off offset:16
	s_waitcnt vmcnt(0)
	v_cmp_eq_u64_e32 vcc, 0, v[8:9]
	s_cbranch_vccnz .LBB1_75
; %bb.74:                               ;   in Loop: Header=BB1_3 Depth=1
	global_load_dword v29, v[6:7], off offset:24
	s_waitcnt vmcnt(0)
	v_readfirstlane_b32 s16, v29
	s_and_b32 m0, s16, 0xffffff
	global_store_dwordx2 v[8:9], v[29:30], off
	s_sendmsg sendmsg(MSG_INTERRUPT)
.LBB1_75:                               ;   in Loop: Header=BB1_3 Depth=1
	s_or_b64 exec, exec, s[14:15]
	v_add_co_u32_e32 v6, vcc, v0, v39
	v_addc_co_u32_e32 v7, vcc, 0, v28, vcc
	s_branch .LBB1_79
.LBB1_76:                               ;   in Loop: Header=BB1_79 Depth=2
	s_or_b64 exec, exec, s[14:15]
	v_readfirstlane_b32 s14, v0
	s_cmp_eq_u32 s14, 0
	s_cbranch_scc1 .LBB1_78
; %bb.77:                               ;   in Loop: Header=BB1_79 Depth=2
	s_sleep 1
	s_cbranch_execnz .LBB1_79
	s_branch .LBB1_81
.LBB1_78:                               ;   in Loop: Header=BB1_3 Depth=1
	s_branch .LBB1_81
.LBB1_79:                               ;   Parent Loop BB1_3 Depth=1
                                        ; =>  This Inner Loop Header: Depth=2
	v_mov_b32_e32 v0, 1
	s_and_saveexec_b64 s[14:15], s[4:5]
	s_cbranch_execz .LBB1_76
; %bb.80:                               ;   in Loop: Header=BB1_79 Depth=2
	global_load_dword v0, v[35:36], off offset:20 glc
	s_waitcnt vmcnt(0)
	buffer_wbinvl1_vol
	v_and_b32_e32 v0, 1, v0
	s_branch .LBB1_76
.LBB1_81:                               ;   in Loop: Header=BB1_3 Depth=1
	global_load_dwordx2 v[6:7], v[6:7], off
	s_and_saveexec_b64 s[14:15], s[4:5]
	s_cbranch_execz .LBB1_2
; %bb.82:                               ;   in Loop: Header=BB1_3 Depth=1
	global_load_dwordx2 v[8:9], v30, s[10:11] offset:40
	global_load_dwordx2 v[18:19], v30, s[10:11] offset:24 glc
	global_load_dwordx2 v[10:11], v30, s[10:11]
	s_waitcnt vmcnt(2)
	v_readfirstlane_b32 s16, v8
	v_readfirstlane_b32 s17, v9
	s_add_u32 s18, s16, 1
	s_addc_u32 s19, s17, 0
	s_add_u32 s4, s18, s12
	s_addc_u32 s5, s19, s13
	s_cmp_eq_u64 s[4:5], 0
	s_cselect_b32 s5, s19, s5
	s_cselect_b32 s4, s18, s4
	s_and_b64 s[12:13], s[4:5], s[16:17]
	s_mul_i32 s13, s13, 24
	s_mul_hi_u32 s16, s12, 24
	s_mul_i32 s12, s12, 24
	s_add_i32 s13, s16, s13
	v_mov_b32_e32 v0, s13
	s_waitcnt vmcnt(0)
	v_add_co_u32_e32 v14, vcc, s12, v10
	v_addc_co_u32_e32 v15, vcc, v11, v0, vcc
	v_mov_b32_e32 v16, s4
	global_store_dwordx2 v[14:15], v[18:19], off
	v_mov_b32_e32 v17, s5
	s_waitcnt vmcnt(0)
	global_atomic_cmpswap_x2 v[10:11], v30, v[16:19], s[10:11] offset:24 glc
	s_waitcnt vmcnt(0)
	v_cmp_ne_u64_e32 vcc, v[10:11], v[18:19]
	s_and_b64 exec, exec, vcc
	s_cbranch_execz .LBB1_2
; %bb.83:                               ;   in Loop: Header=BB1_3 Depth=1
	s_mov_b64 s[12:13], 0
.LBB1_84:                               ;   Parent Loop BB1_3 Depth=1
                                        ; =>  This Inner Loop Header: Depth=2
	s_sleep 1
	global_store_dwordx2 v[14:15], v[10:11], off
	v_mov_b32_e32 v8, s4
	v_mov_b32_e32 v9, s5
	s_waitcnt vmcnt(0)
	global_atomic_cmpswap_x2 v[8:9], v30, v[8:11], s[10:11] offset:24 glc
	s_waitcnt vmcnt(0)
	v_cmp_eq_u64_e32 vcc, v[8:9], v[10:11]
	v_mov_b32_e32 v11, v9
	s_or_b64 s[12:13], vcc, s[12:13]
	v_mov_b32_e32 v10, v8
	s_andn2_b64 exec, exec, s[12:13]
	s_cbranch_execnz .LBB1_84
	s_branch .LBB1_2
.LBB1_85:
	s_or_b64 exec, exec, s[6:7]
.LBB1_86:
	s_waitcnt vmcnt(0)
	v_mov_b32_e32 v0, v6
	v_mov_b32_e32 v1, v7
	s_waitcnt lgkmcnt(0)
	s_setpc_b64 s[30:31]
.LBB1_87:
                                        ; implicit-def: $vgpr6_vgpr7
	s_cbranch_execz .LBB1_86
; %bb.88:
	s_load_dwordx2 s[6:7], s[8:9], 0x50
	v_mbcnt_hi_u32_b32 v10, -1, v2
	v_readfirstlane_b32 s4, v10
	v_mov_b32_e32 v8, 0
	v_mov_b32_e32 v9, 0
	v_cmp_eq_u32_e64 s[4:5], s4, v10
	s_and_saveexec_b64 s[8:9], s[4:5]
	s_cbranch_execz .LBB1_94
; %bb.89:
	v_mov_b32_e32 v0, 0
	s_waitcnt lgkmcnt(0)
	global_load_dwordx2 v[6:7], v0, s[6:7] offset:24 glc
	s_waitcnt vmcnt(0)
	buffer_wbinvl1_vol
	global_load_dwordx2 v[4:5], v0, s[6:7] offset:40
	global_load_dwordx2 v[8:9], v0, s[6:7]
	s_waitcnt vmcnt(1)
	v_and_b32_e32 v2, v4, v6
	v_and_b32_e32 v4, v5, v7
	v_mul_lo_u32 v4, v4, 24
	v_mul_hi_u32 v5, v2, 24
	v_mul_lo_u32 v2, v2, 24
	v_add_u32_e32 v5, v5, v4
	s_waitcnt vmcnt(0)
	v_add_co_u32_e32 v4, vcc, v8, v2
	v_addc_co_u32_e32 v5, vcc, v9, v5, vcc
	global_load_dwordx2 v[4:5], v[4:5], off glc
	s_waitcnt vmcnt(0)
	global_atomic_cmpswap_x2 v[8:9], v0, v[4:7], s[6:7] offset:24 glc
	s_waitcnt vmcnt(0)
	buffer_wbinvl1_vol
	v_cmp_ne_u64_e32 vcc, v[8:9], v[6:7]
	s_and_saveexec_b64 s[10:11], vcc
	s_cbranch_execz .LBB1_93
; %bb.90:
	s_mov_b64 s[12:13], 0
.LBB1_91:                               ; =>This Inner Loop Header: Depth=1
	s_sleep 1
	global_load_dwordx2 v[4:5], v0, s[6:7] offset:40
	global_load_dwordx2 v[11:12], v0, s[6:7]
	v_mov_b32_e32 v6, v8
	v_mov_b32_e32 v7, v9
	s_waitcnt vmcnt(1)
	v_and_b32_e32 v2, v4, v6
	s_waitcnt vmcnt(0)
	v_mad_u64_u32 v[8:9], s[14:15], v2, 24, v[11:12]
	v_and_b32_e32 v4, v5, v7
	v_mov_b32_e32 v2, v9
	v_mad_u64_u32 v[4:5], s[14:15], v4, 24, v[2:3]
	v_mov_b32_e32 v9, v4
	global_load_dwordx2 v[4:5], v[8:9], off glc
	s_waitcnt vmcnt(0)
	global_atomic_cmpswap_x2 v[8:9], v0, v[4:7], s[6:7] offset:24 glc
	s_waitcnt vmcnt(0)
	buffer_wbinvl1_vol
	v_cmp_eq_u64_e32 vcc, v[8:9], v[6:7]
	s_or_b64 s[12:13], vcc, s[12:13]
	s_andn2_b64 exec, exec, s[12:13]
	s_cbranch_execnz .LBB1_91
; %bb.92:
	s_or_b64 exec, exec, s[12:13]
.LBB1_93:
	s_or_b64 exec, exec, s[10:11]
.LBB1_94:
	s_or_b64 exec, exec, s[8:9]
	v_mov_b32_e32 v2, 0
	s_waitcnt lgkmcnt(0)
	global_load_dwordx2 v[11:12], v2, s[6:7] offset:40
	global_load_dwordx4 v[4:7], v2, s[6:7]
	v_readfirstlane_b32 s9, v9
	v_readfirstlane_b32 s8, v8
	s_mov_b64 s[10:11], exec
	s_waitcnt vmcnt(1)
	v_readfirstlane_b32 s12, v11
	v_readfirstlane_b32 s13, v12
	s_and_b64 s[12:13], s[12:13], s[8:9]
	s_mul_i32 s14, s13, 24
	s_mul_hi_u32 s15, s12, 24
	s_mul_i32 s16, s12, 24
	s_add_i32 s14, s15, s14
	v_mov_b32_e32 v0, s14
	s_waitcnt vmcnt(0)
	v_add_co_u32_e32 v8, vcc, s16, v4
	v_addc_co_u32_e32 v9, vcc, v5, v0, vcc
	s_and_saveexec_b64 s[14:15], s[4:5]
	s_cbranch_execz .LBB1_96
; %bb.95:
	v_mov_b32_e32 v12, s11
	v_mov_b32_e32 v11, s10
	;; [unrolled: 1-line block ×4, first 2 shown]
	global_store_dwordx4 v[8:9], v[11:14], off offset:8
.LBB1_96:
	s_or_b64 exec, exec, s[14:15]
	s_lshl_b64 s[10:11], s[12:13], 12
	v_mov_b32_e32 v0, s11
	v_add_co_u32_e32 v11, vcc, s10, v6
	v_addc_co_u32_e32 v12, vcc, v7, v0, vcc
	s_movk_i32 s10, 0xff1f
	v_and_or_b32 v0, v3, s10, 32
	v_lshlrev_b32_e32 v10, 6, v10
	s_mov_b32 s12, 0
	v_mov_b32_e32 v3, v2
	v_readfirstlane_b32 s10, v11
	v_readfirstlane_b32 s11, v12
	v_add_co_u32_e32 v6, vcc, v11, v10
	s_mov_b32 s13, s12
	s_mov_b32 s14, s12
	;; [unrolled: 1-line block ×3, first 2 shown]
	s_nop 0
	global_store_dwordx4 v10, v[0:3], s[10:11]
	v_addc_co_u32_e32 v7, vcc, 0, v12, vcc
	v_mov_b32_e32 v0, s12
	v_mov_b32_e32 v1, s13
	;; [unrolled: 1-line block ×4, first 2 shown]
	global_store_dwordx4 v10, v[0:3], s[10:11] offset:16
	global_store_dwordx4 v10, v[0:3], s[10:11] offset:32
	;; [unrolled: 1-line block ×3, first 2 shown]
	s_and_saveexec_b64 s[10:11], s[4:5]
	s_cbranch_execz .LBB1_104
; %bb.97:
	v_mov_b32_e32 v10, 0
	global_load_dwordx2 v[13:14], v10, s[6:7] offset:32 glc
	global_load_dwordx2 v[0:1], v10, s[6:7] offset:40
	v_mov_b32_e32 v11, s8
	v_mov_b32_e32 v12, s9
	s_waitcnt vmcnt(0)
	v_and_b32_e32 v0, s8, v0
	v_and_b32_e32 v1, s9, v1
	v_mul_lo_u32 v1, v1, 24
	v_mul_hi_u32 v2, v0, 24
	v_mul_lo_u32 v0, v0, 24
	v_add_u32_e32 v1, v2, v1
	v_add_co_u32_e32 v4, vcc, v4, v0
	v_addc_co_u32_e32 v5, vcc, v5, v1, vcc
	global_store_dwordx2 v[4:5], v[13:14], off
	s_waitcnt vmcnt(0)
	global_atomic_cmpswap_x2 v[2:3], v10, v[11:14], s[6:7] offset:32 glc
	s_waitcnt vmcnt(0)
	v_cmp_ne_u64_e32 vcc, v[2:3], v[13:14]
	s_and_saveexec_b64 s[12:13], vcc
	s_cbranch_execz .LBB1_100
; %bb.98:
	s_mov_b64 s[14:15], 0
.LBB1_99:                               ; =>This Inner Loop Header: Depth=1
	s_sleep 1
	global_store_dwordx2 v[4:5], v[2:3], off
	v_mov_b32_e32 v0, s8
	v_mov_b32_e32 v1, s9
	s_waitcnt vmcnt(0)
	global_atomic_cmpswap_x2 v[0:1], v10, v[0:3], s[6:7] offset:32 glc
	s_waitcnt vmcnt(0)
	v_cmp_eq_u64_e32 vcc, v[0:1], v[2:3]
	v_mov_b32_e32 v3, v1
	s_or_b64 s[14:15], vcc, s[14:15]
	v_mov_b32_e32 v2, v0
	s_andn2_b64 exec, exec, s[14:15]
	s_cbranch_execnz .LBB1_99
.LBB1_100:
	s_or_b64 exec, exec, s[12:13]
	v_mov_b32_e32 v3, 0
	global_load_dwordx2 v[0:1], v3, s[6:7] offset:16
	s_mov_b64 s[12:13], exec
	v_mbcnt_lo_u32_b32 v2, s12, 0
	v_mbcnt_hi_u32_b32 v2, s13, v2
	v_cmp_eq_u32_e32 vcc, 0, v2
	s_and_saveexec_b64 s[14:15], vcc
	s_cbranch_execz .LBB1_102
; %bb.101:
	s_bcnt1_i32_b64 s12, s[12:13]
	v_mov_b32_e32 v2, s12
	s_waitcnt vmcnt(0)
	global_atomic_add_x2 v[0:1], v[2:3], off offset:8
.LBB1_102:
	s_or_b64 exec, exec, s[14:15]
	s_waitcnt vmcnt(0)
	global_load_dwordx2 v[2:3], v[0:1], off offset:16
	s_waitcnt vmcnt(0)
	v_cmp_eq_u64_e32 vcc, 0, v[2:3]
	s_cbranch_vccnz .LBB1_104
; %bb.103:
	global_load_dword v0, v[0:1], off offset:24
	v_mov_b32_e32 v1, 0
	s_waitcnt vmcnt(0)
	v_readfirstlane_b32 s12, v0
	s_and_b32 m0, s12, 0xffffff
	global_store_dwordx2 v[2:3], v[0:1], off
	s_sendmsg sendmsg(MSG_INTERRUPT)
.LBB1_104:
	s_or_b64 exec, exec, s[10:11]
	s_branch .LBB1_108
.LBB1_105:                              ;   in Loop: Header=BB1_108 Depth=1
	s_or_b64 exec, exec, s[10:11]
	v_readfirstlane_b32 s10, v0
	s_cmp_eq_u32 s10, 0
	s_cbranch_scc1 .LBB1_107
; %bb.106:                              ;   in Loop: Header=BB1_108 Depth=1
	s_sleep 1
	s_cbranch_execnz .LBB1_108
	s_branch .LBB1_110
.LBB1_107:
	s_branch .LBB1_110
.LBB1_108:                              ; =>This Inner Loop Header: Depth=1
	v_mov_b32_e32 v0, 1
	s_and_saveexec_b64 s[10:11], s[4:5]
	s_cbranch_execz .LBB1_105
; %bb.109:                              ;   in Loop: Header=BB1_108 Depth=1
	global_load_dword v0, v[8:9], off offset:20 glc
	s_waitcnt vmcnt(0)
	buffer_wbinvl1_vol
	v_and_b32_e32 v0, 1, v0
	s_branch .LBB1_105
.LBB1_110:
	global_load_dwordx2 v[6:7], v[6:7], off
	s_and_saveexec_b64 s[10:11], s[4:5]
	s_cbranch_execz .LBB1_113
; %bb.111:
	v_mov_b32_e32 v8, 0
	global_load_dwordx2 v[0:1], v8, s[6:7] offset:40
	global_load_dwordx2 v[11:12], v8, s[6:7] offset:24 glc
	global_load_dwordx2 v[2:3], v8, s[6:7]
	s_waitcnt vmcnt(2)
	v_readfirstlane_b32 s12, v0
	v_readfirstlane_b32 s13, v1
	s_add_u32 s14, s12, 1
	s_addc_u32 s15, s13, 0
	s_add_u32 s4, s14, s8
	s_addc_u32 s5, s15, s9
	s_cmp_eq_u64 s[4:5], 0
	s_cselect_b32 s5, s15, s5
	s_cselect_b32 s4, s14, s4
	s_and_b64 s[8:9], s[4:5], s[12:13]
	s_mul_i32 s9, s9, 24
	s_mul_hi_u32 s12, s8, 24
	s_mul_i32 s8, s8, 24
	s_add_i32 s9, s12, s9
	v_mov_b32_e32 v0, s9
	s_waitcnt vmcnt(0)
	v_add_co_u32_e32 v4, vcc, s8, v2
	v_addc_co_u32_e32 v5, vcc, v3, v0, vcc
	v_mov_b32_e32 v9, s4
	global_store_dwordx2 v[4:5], v[11:12], off
	v_mov_b32_e32 v10, s5
	s_waitcnt vmcnt(0)
	global_atomic_cmpswap_x2 v[2:3], v8, v[9:12], s[6:7] offset:24 glc
	s_mov_b64 s[8:9], 0
	s_waitcnt vmcnt(0)
	v_cmp_ne_u64_e32 vcc, v[2:3], v[11:12]
	s_and_b64 exec, exec, vcc
	s_cbranch_execz .LBB1_113
.LBB1_112:                              ; =>This Inner Loop Header: Depth=1
	s_sleep 1
	global_store_dwordx2 v[4:5], v[2:3], off
	v_mov_b32_e32 v0, s4
	v_mov_b32_e32 v1, s5
	s_waitcnt vmcnt(0)
	global_atomic_cmpswap_x2 v[0:1], v8, v[0:3], s[6:7] offset:24 glc
	s_waitcnt vmcnt(0)
	v_cmp_eq_u64_e32 vcc, v[0:1], v[2:3]
	v_mov_b32_e32 v3, v1
	s_or_b64 s[8:9], vcc, s[8:9]
	v_mov_b32_e32 v2, v0
	s_andn2_b64 exec, exec, s[8:9]
	s_cbranch_execnz .LBB1_112
.LBB1_113:
	s_or_b64 exec, exec, s[10:11]
	s_waitcnt vmcnt(0)
	v_mov_b32_e32 v0, v6
	v_mov_b32_e32 v1, v7
	s_waitcnt lgkmcnt(0)
	s_setpc_b64 s[30:31]
.Lfunc_end1:
	.size	__ockl_printf_append_string_n, .Lfunc_end1-__ockl_printf_append_string_n
                                        ; -- End function
	.set .L__ockl_printf_append_string_n.num_vgpr, 40
	.set .L__ockl_printf_append_string_n.num_agpr, 0
	.set .L__ockl_printf_append_string_n.numbered_sgpr, 32
	.set .L__ockl_printf_append_string_n.num_named_barrier, 0
	.set .L__ockl_printf_append_string_n.private_seg_size, 0
	.set .L__ockl_printf_append_string_n.uses_vcc, 1
	.set .L__ockl_printf_append_string_n.uses_flat_scratch, 0
	.set .L__ockl_printf_append_string_n.has_dyn_sized_stack, 0
	.set .L__ockl_printf_append_string_n.has_recursion, 0
	.set .L__ockl_printf_append_string_n.has_indirect_call, 0
	.section	.AMDGPU.csdata,"",@progbits
; Function info:
; codeLenInByte = 3920
; TotalNumSgprs: 36
; NumVgprs: 40
; ScratchSize: 0
; MemoryBound: 0
	.text
	.p2align	2                               ; -- Begin function __ockl_printf_append_args
	.type	__ockl_printf_append_args,@function
__ockl_printf_append_args:              ; @__ockl_printf_append_args
; %bb.0:
	s_waitcnt vmcnt(0) expcnt(0) lgkmcnt(0)
	s_load_dwordx2 s[6:7], s[8:9], 0x50
	v_mbcnt_lo_u32_b32 v5, -1, 0
	v_mbcnt_hi_u32_b32 v11, -1, v5
	v_readfirstlane_b32 s4, v11
	v_mov_b32_e32 v9, 0
	v_mov_b32_e32 v10, 0
	v_cmp_eq_u32_e64 s[4:5], s4, v11
	s_and_saveexec_b64 s[8:9], s[4:5]
	s_cbranch_execz .LBB2_6
; %bb.1:
	v_mov_b32_e32 v5, 0
	s_waitcnt lgkmcnt(0)
	global_load_dwordx2 v[14:15], v5, s[6:7] offset:24 glc
	s_waitcnt vmcnt(0)
	buffer_wbinvl1_vol
	global_load_dwordx2 v[6:7], v5, s[6:7] offset:40
	global_load_dwordx2 v[8:9], v5, s[6:7]
	s_waitcnt vmcnt(1)
	v_and_b32_e32 v6, v6, v14
	v_and_b32_e32 v7, v7, v15
	v_mul_lo_u32 v7, v7, 24
	v_mul_hi_u32 v10, v6, 24
	v_mul_lo_u32 v6, v6, 24
	v_add_u32_e32 v7, v10, v7
	s_waitcnt vmcnt(0)
	v_add_co_u32_e32 v6, vcc, v8, v6
	v_addc_co_u32_e32 v7, vcc, v9, v7, vcc
	global_load_dwordx2 v[12:13], v[6:7], off glc
	s_waitcnt vmcnt(0)
	global_atomic_cmpswap_x2 v[9:10], v5, v[12:15], s[6:7] offset:24 glc
	s_waitcnt vmcnt(0)
	buffer_wbinvl1_vol
	v_cmp_ne_u64_e32 vcc, v[9:10], v[14:15]
	s_and_saveexec_b64 s[10:11], vcc
	s_cbranch_execz .LBB2_5
; %bb.2:
	s_mov_b64 s[12:13], 0
.LBB2_3:                                ; =>This Inner Loop Header: Depth=1
	s_sleep 1
	global_load_dwordx2 v[6:7], v5, s[6:7] offset:40
	global_load_dwordx2 v[12:13], v5, s[6:7]
	v_mov_b32_e32 v15, v10
	v_mov_b32_e32 v14, v9
	s_waitcnt vmcnt(1)
	v_and_b32_e32 v6, v6, v14
	s_waitcnt vmcnt(0)
	v_mad_u64_u32 v[8:9], s[14:15], v6, 24, v[12:13]
	v_and_b32_e32 v7, v7, v15
	v_mov_b32_e32 v6, v9
	v_mad_u64_u32 v[6:7], s[14:15], v7, 24, v[6:7]
	v_mov_b32_e32 v9, v6
	global_load_dwordx2 v[12:13], v[8:9], off glc
	s_waitcnt vmcnt(0)
	global_atomic_cmpswap_x2 v[9:10], v5, v[12:15], s[6:7] offset:24 glc
	s_waitcnt vmcnt(0)
	buffer_wbinvl1_vol
	v_cmp_eq_u64_e32 vcc, v[9:10], v[14:15]
	s_or_b64 s[12:13], vcc, s[12:13]
	s_andn2_b64 exec, exec, s[12:13]
	s_cbranch_execnz .LBB2_3
; %bb.4:
	s_or_b64 exec, exec, s[12:13]
.LBB2_5:
	s_or_b64 exec, exec, s[10:11]
.LBB2_6:
	s_or_b64 exec, exec, s[8:9]
	v_mov_b32_e32 v14, 0
	s_waitcnt lgkmcnt(0)
	global_load_dwordx2 v[12:13], v14, s[6:7] offset:40
	global_load_dwordx4 v[5:8], v14, s[6:7]
	v_readfirstlane_b32 s9, v10
	v_readfirstlane_b32 s8, v9
	s_mov_b64 s[10:11], exec
	s_waitcnt vmcnt(1)
	v_readfirstlane_b32 s12, v12
	v_readfirstlane_b32 s13, v13
	s_and_b64 s[12:13], s[12:13], s[8:9]
	s_mul_i32 s14, s13, 24
	s_mul_hi_u32 s15, s12, 24
	s_mul_i32 s16, s12, 24
	s_add_i32 s14, s15, s14
	v_mov_b32_e32 v10, s14
	s_waitcnt vmcnt(0)
	v_add_co_u32_e32 v9, vcc, s16, v5
	v_addc_co_u32_e32 v10, vcc, v6, v10, vcc
	s_and_saveexec_b64 s[14:15], s[4:5]
	s_cbranch_execz .LBB2_8
; %bb.7:
	v_mov_b32_e32 v13, s11
	v_mov_b32_e32 v12, s10
	v_mov_b32_e32 v14, 2
	v_mov_b32_e32 v15, 1
	global_store_dwordx4 v[9:10], v[12:15], off offset:8
.LBB2_8:
	s_or_b64 exec, exec, s[14:15]
	s_lshl_b64 s[10:11], s[12:13], 12
	v_mov_b32_e32 v12, s11
	v_add_co_u32_e32 v7, vcc, s10, v7
	v_addc_co_u32_e32 v8, vcc, v8, v12, vcc
	v_or_b32_e32 v12, 2, v0
	v_cmp_eq_u32_e32 vcc, 0, v4
	v_cndmask_b32_e32 v0, v12, v0, vcc
	s_movk_i32 s10, 0xff1f
	s_mov_b32 s12, 0
	v_and_or_b32 v0, v0, s10, 32
	v_lshlrev_b32_e32 v4, 6, v11
	v_readfirstlane_b32 s10, v7
	v_readfirstlane_b32 s11, v8
	s_mov_b32 s13, s12
	s_mov_b32 s14, s12
	;; [unrolled: 1-line block ×3, first 2 shown]
	s_nop 1
	global_store_dwordx4 v4, v[0:3], s[10:11]
	s_nop 0
	v_mov_b32_e32 v0, s12
	v_mov_b32_e32 v1, s13
	;; [unrolled: 1-line block ×4, first 2 shown]
	global_store_dwordx4 v4, v[0:3], s[10:11] offset:16
	global_store_dwordx4 v4, v[0:3], s[10:11] offset:32
	;; [unrolled: 1-line block ×3, first 2 shown]
	s_and_saveexec_b64 s[10:11], s[4:5]
	s_cbranch_execz .LBB2_16
; %bb.9:
	v_mov_b32_e32 v7, 0
	global_load_dwordx2 v[13:14], v7, s[6:7] offset:32 glc
	global_load_dwordx2 v[0:1], v7, s[6:7] offset:40
	v_mov_b32_e32 v11, s8
	v_mov_b32_e32 v12, s9
	s_waitcnt vmcnt(0)
	v_and_b32_e32 v0, s8, v0
	v_and_b32_e32 v1, s9, v1
	v_mul_lo_u32 v1, v1, 24
	v_mul_hi_u32 v2, v0, 24
	v_mul_lo_u32 v0, v0, 24
	v_add_u32_e32 v1, v2, v1
	v_add_co_u32_e32 v4, vcc, v5, v0
	v_addc_co_u32_e32 v5, vcc, v6, v1, vcc
	global_store_dwordx2 v[4:5], v[13:14], off
	s_waitcnt vmcnt(0)
	global_atomic_cmpswap_x2 v[2:3], v7, v[11:14], s[6:7] offset:32 glc
	s_waitcnt vmcnt(0)
	v_cmp_ne_u64_e32 vcc, v[2:3], v[13:14]
	s_and_saveexec_b64 s[12:13], vcc
	s_cbranch_execz .LBB2_12
; %bb.10:
	s_mov_b64 s[14:15], 0
.LBB2_11:                               ; =>This Inner Loop Header: Depth=1
	s_sleep 1
	global_store_dwordx2 v[4:5], v[2:3], off
	v_mov_b32_e32 v0, s8
	v_mov_b32_e32 v1, s9
	s_waitcnt vmcnt(0)
	global_atomic_cmpswap_x2 v[0:1], v7, v[0:3], s[6:7] offset:32 glc
	s_waitcnt vmcnt(0)
	v_cmp_eq_u64_e32 vcc, v[0:1], v[2:3]
	v_mov_b32_e32 v3, v1
	s_or_b64 s[14:15], vcc, s[14:15]
	v_mov_b32_e32 v2, v0
	s_andn2_b64 exec, exec, s[14:15]
	s_cbranch_execnz .LBB2_11
.LBB2_12:
	s_or_b64 exec, exec, s[12:13]
	v_mov_b32_e32 v3, 0
	global_load_dwordx2 v[0:1], v3, s[6:7] offset:16
	s_mov_b64 s[12:13], exec
	v_mbcnt_lo_u32_b32 v2, s12, 0
	v_mbcnt_hi_u32_b32 v2, s13, v2
	v_cmp_eq_u32_e32 vcc, 0, v2
	s_and_saveexec_b64 s[14:15], vcc
	s_cbranch_execz .LBB2_14
; %bb.13:
	s_bcnt1_i32_b64 s12, s[12:13]
	v_mov_b32_e32 v2, s12
	s_waitcnt vmcnt(0)
	global_atomic_add_x2 v[0:1], v[2:3], off offset:8
.LBB2_14:
	s_or_b64 exec, exec, s[14:15]
	s_waitcnt vmcnt(0)
	global_load_dwordx2 v[2:3], v[0:1], off offset:16
	s_waitcnt vmcnt(0)
	v_cmp_eq_u64_e32 vcc, 0, v[2:3]
	s_cbranch_vccnz .LBB2_16
; %bb.15:
	global_load_dword v0, v[0:1], off offset:24
	v_mov_b32_e32 v1, 0
	s_waitcnt vmcnt(0)
	v_readfirstlane_b32 s12, v0
	s_and_b32 m0, s12, 0xffffff
	global_store_dwordx2 v[2:3], v[0:1], off
	s_sendmsg sendmsg(MSG_INTERRUPT)
.LBB2_16:
	s_or_b64 exec, exec, s[10:11]
	s_branch .LBB2_20
.LBB2_17:                               ;   in Loop: Header=BB2_20 Depth=1
	s_or_b64 exec, exec, s[10:11]
	v_readfirstlane_b32 s10, v0
	s_cmp_eq_u32 s10, 0
	s_cbranch_scc1 .LBB2_19
; %bb.18:                               ;   in Loop: Header=BB2_20 Depth=1
	s_sleep 1
	s_cbranch_execnz .LBB2_20
	s_branch .LBB2_22
.LBB2_19:
	s_branch .LBB2_22
.LBB2_20:                               ; =>This Inner Loop Header: Depth=1
	v_mov_b32_e32 v0, 1
	s_and_saveexec_b64 s[10:11], s[4:5]
	s_cbranch_execz .LBB2_17
; %bb.21:                               ;   in Loop: Header=BB2_20 Depth=1
	global_load_dword v0, v[9:10], off offset:20 glc
	s_waitcnt vmcnt(0)
	buffer_wbinvl1_vol
	v_and_b32_e32 v0, 1, v0
	s_branch .LBB2_17
.LBB2_22:
	s_and_saveexec_b64 s[10:11], s[4:5]
	s_cbranch_execz .LBB2_25
; %bb.23:
	v_mov_b32_e32 v6, 0
	global_load_dwordx2 v[0:1], v6, s[6:7] offset:40
	global_load_dwordx2 v[9:10], v6, s[6:7] offset:24 glc
	global_load_dwordx2 v[2:3], v6, s[6:7]
	s_waitcnt vmcnt(2)
	v_readfirstlane_b32 s12, v0
	v_readfirstlane_b32 s13, v1
	s_add_u32 s14, s12, 1
	s_addc_u32 s15, s13, 0
	s_add_u32 s4, s14, s8
	s_addc_u32 s5, s15, s9
	s_cmp_eq_u64 s[4:5], 0
	s_cselect_b32 s5, s15, s5
	s_cselect_b32 s4, s14, s4
	s_and_b64 s[8:9], s[4:5], s[12:13]
	s_mul_i32 s9, s9, 24
	s_mul_hi_u32 s12, s8, 24
	s_mul_i32 s8, s8, 24
	s_add_i32 s9, s12, s9
	v_mov_b32_e32 v0, s9
	s_waitcnt vmcnt(0)
	v_add_co_u32_e32 v4, vcc, s8, v2
	v_addc_co_u32_e32 v5, vcc, v3, v0, vcc
	v_mov_b32_e32 v7, s4
	global_store_dwordx2 v[4:5], v[9:10], off
	v_mov_b32_e32 v8, s5
	s_waitcnt vmcnt(0)
	global_atomic_cmpswap_x2 v[2:3], v6, v[7:10], s[6:7] offset:24 glc
	s_mov_b64 s[8:9], 0
	s_waitcnt vmcnt(0)
	v_cmp_ne_u64_e32 vcc, v[2:3], v[9:10]
	s_and_b64 exec, exec, vcc
	s_cbranch_execz .LBB2_25
.LBB2_24:                               ; =>This Inner Loop Header: Depth=1
	s_sleep 1
	global_store_dwordx2 v[4:5], v[2:3], off
	v_mov_b32_e32 v0, s4
	v_mov_b32_e32 v1, s5
	s_waitcnt vmcnt(0)
	global_atomic_cmpswap_x2 v[0:1], v6, v[0:3], s[6:7] offset:24 glc
	s_waitcnt vmcnt(0)
	v_cmp_eq_u64_e32 vcc, v[0:1], v[2:3]
	v_mov_b32_e32 v3, v1
	s_or_b64 s[8:9], vcc, s[8:9]
	v_mov_b32_e32 v2, v0
	s_andn2_b64 exec, exec, s[8:9]
	s_cbranch_execnz .LBB2_24
.LBB2_25:
	s_or_b64 exec, exec, s[10:11]
	s_waitcnt vmcnt(0) lgkmcnt(0)
	s_setpc_b64 s[30:31]
.Lfunc_end2:
	.size	__ockl_printf_append_args, .Lfunc_end2-__ockl_printf_append_args
                                        ; -- End function
	.set .L__ockl_printf_append_args.num_vgpr, 16
	.set .L__ockl_printf_append_args.num_agpr, 0
	.set .L__ockl_printf_append_args.numbered_sgpr, 32
	.set .L__ockl_printf_append_args.num_named_barrier, 0
	.set .L__ockl_printf_append_args.private_seg_size, 0
	.set .L__ockl_printf_append_args.uses_vcc, 1
	.set .L__ockl_printf_append_args.uses_flat_scratch, 0
	.set .L__ockl_printf_append_args.has_dyn_sized_stack, 0
	.set .L__ockl_printf_append_args.has_recursion, 0
	.set .L__ockl_printf_append_args.has_indirect_call, 0
	.section	.AMDGPU.csdata,"",@progbits
; Function info:
; codeLenInByte = 1204
; TotalNumSgprs: 36
; NumVgprs: 16
; ScratchSize: 0
; MemoryBound: 0
	.text
	.p2align	2                               ; -- Begin function _ZL14no_device_codePKciS0_iS0_
	.type	_ZL14no_device_codePKciS0_iS0_,@function
_ZL14no_device_codePKciS0_iS0_:         ; @_ZL14no_device_codePKciS0_iS0_
; %bb.0:
	s_waitcnt vmcnt(0) expcnt(0) lgkmcnt(0)
	s_mov_b32 s26, s33
	s_mov_b32 s33, s32
	s_or_saveexec_b64 s[4:5], -1
	buffer_store_dword v40, off, s[0:3], s33 ; 4-byte Folded Spill
	s_mov_b64 exec, s[4:5]
	v_writelane_b32 v40, s30, 0
	s_addk_i32 s32, 0x400
	v_writelane_b32 v40, s31, 1
	s_load_dwordx2 s[6:7], s[8:9], 0x50
	v_mbcnt_lo_u32_b32 v0, -1, 0
	v_mbcnt_hi_u32_b32 v30, -1, v0
	v_readfirstlane_b32 s4, v30
	v_mov_b32_e32 v5, 0
	v_mov_b32_e32 v6, 0
	v_cmp_eq_u32_e64 s[4:5], s4, v30
	s_and_saveexec_b64 s[10:11], s[4:5]
	s_cbranch_execz .LBB3_6
; %bb.1:
	v_mov_b32_e32 v0, 0
	s_waitcnt lgkmcnt(0)
	global_load_dwordx2 v[3:4], v0, s[6:7] offset:24 glc
	s_waitcnt vmcnt(0)
	buffer_wbinvl1_vol
	global_load_dwordx2 v[1:2], v0, s[6:7] offset:40
	global_load_dwordx2 v[5:6], v0, s[6:7]
	s_waitcnt vmcnt(1)
	v_and_b32_e32 v1, v1, v3
	v_and_b32_e32 v2, v2, v4
	v_mul_lo_u32 v2, v2, 24
	v_mul_hi_u32 v7, v1, 24
	v_mul_lo_u32 v1, v1, 24
	v_add_u32_e32 v2, v7, v2
	s_waitcnt vmcnt(0)
	v_add_co_u32_e32 v1, vcc, v5, v1
	v_addc_co_u32_e32 v2, vcc, v6, v2, vcc
	global_load_dwordx2 v[1:2], v[1:2], off glc
	s_waitcnt vmcnt(0)
	global_atomic_cmpswap_x2 v[5:6], v0, v[1:4], s[6:7] offset:24 glc
	s_waitcnt vmcnt(0)
	buffer_wbinvl1_vol
	v_cmp_ne_u64_e32 vcc, v[5:6], v[3:4]
	s_and_saveexec_b64 s[12:13], vcc
	s_cbranch_execz .LBB3_5
; %bb.2:
	s_mov_b64 s[14:15], 0
.LBB3_3:                                ; =>This Inner Loop Header: Depth=1
	s_sleep 1
	global_load_dwordx2 v[1:2], v0, s[6:7] offset:40
	global_load_dwordx2 v[7:8], v0, s[6:7]
	v_mov_b32_e32 v3, v5
	v_mov_b32_e32 v4, v6
	s_waitcnt vmcnt(1)
	v_and_b32_e32 v1, v1, v3
	s_waitcnt vmcnt(0)
	v_mad_u64_u32 v[5:6], s[16:17], v1, 24, v[7:8]
	v_and_b32_e32 v2, v2, v4
	v_mov_b32_e32 v1, v6
	v_mad_u64_u32 v[1:2], s[16:17], v2, 24, v[1:2]
	v_mov_b32_e32 v6, v1
	global_load_dwordx2 v[1:2], v[5:6], off glc
	s_waitcnt vmcnt(0)
	global_atomic_cmpswap_x2 v[5:6], v0, v[1:4], s[6:7] offset:24 glc
	s_waitcnt vmcnt(0)
	buffer_wbinvl1_vol
	v_cmp_eq_u64_e32 vcc, v[5:6], v[3:4]
	s_or_b64 s[14:15], vcc, s[14:15]
	s_andn2_b64 exec, exec, s[14:15]
	s_cbranch_execnz .LBB3_3
; %bb.4:
	s_or_b64 exec, exec, s[14:15]
.LBB3_5:
	s_or_b64 exec, exec, s[12:13]
.LBB3_6:
	s_or_b64 exec, exec, s[10:11]
	v_mov_b32_e32 v4, 0
	s_waitcnt lgkmcnt(0)
	global_load_dwordx2 v[7:8], v4, s[6:7] offset:40
	global_load_dwordx4 v[0:3], v4, s[6:7]
	v_readfirstlane_b32 s11, v6
	v_readfirstlane_b32 s10, v5
	s_mov_b64 s[12:13], exec
	s_waitcnt vmcnt(1)
	v_readfirstlane_b32 s14, v7
	v_readfirstlane_b32 s15, v8
	s_and_b64 s[14:15], s[14:15], s[10:11]
	s_mul_i32 s16, s15, 24
	s_mul_hi_u32 s17, s14, 24
	s_mul_i32 s18, s14, 24
	s_add_i32 s16, s17, s16
	v_mov_b32_e32 v5, s16
	s_waitcnt vmcnt(0)
	v_add_co_u32_e32 v7, vcc, s18, v0
	v_addc_co_u32_e32 v8, vcc, v1, v5, vcc
	s_and_saveexec_b64 s[16:17], s[4:5]
	s_cbranch_execz .LBB3_8
; %bb.7:
	v_mov_b32_e32 v9, s12
	v_mov_b32_e32 v10, s13
	;; [unrolled: 1-line block ×4, first 2 shown]
	global_store_dwordx4 v[7:8], v[9:12], off offset:8
.LBB3_8:
	s_or_b64 exec, exec, s[16:17]
	s_lshl_b64 s[12:13], s[14:15], 12
	v_mov_b32_e32 v5, s13
	v_add_co_u32_e32 v2, vcc, s12, v2
	v_addc_co_u32_e32 v11, vcc, v3, v5, vcc
	v_lshlrev_b32_e32 v29, 6, v30
	s_mov_b32 s12, 0
	v_mov_b32_e32 v3, 33
	v_mov_b32_e32 v5, v4
	;; [unrolled: 1-line block ×3, first 2 shown]
	v_readfirstlane_b32 s16, v2
	v_readfirstlane_b32 s17, v11
	v_add_co_u32_e32 v9, vcc, v2, v29
	s_mov_b32 s13, s12
	s_mov_b32 s14, s12
	;; [unrolled: 1-line block ×3, first 2 shown]
	s_nop 0
	global_store_dwordx4 v29, v[3:6], s[16:17]
	v_mov_b32_e32 v2, s12
	v_addc_co_u32_e32 v10, vcc, 0, v11, vcc
	v_mov_b32_e32 v3, s13
	v_mov_b32_e32 v4, s14
	;; [unrolled: 1-line block ×3, first 2 shown]
	global_store_dwordx4 v29, v[2:5], s[16:17] offset:16
	global_store_dwordx4 v29, v[2:5], s[16:17] offset:32
	;; [unrolled: 1-line block ×3, first 2 shown]
	s_and_saveexec_b64 s[12:13], s[4:5]
	s_cbranch_execz .LBB3_16
; %bb.9:
	v_mov_b32_e32 v6, 0
	global_load_dwordx2 v[13:14], v6, s[6:7] offset:32 glc
	global_load_dwordx2 v[2:3], v6, s[6:7] offset:40
	v_mov_b32_e32 v11, s10
	v_mov_b32_e32 v12, s11
	s_waitcnt vmcnt(0)
	v_and_b32_e32 v2, s10, v2
	v_and_b32_e32 v3, s11, v3
	v_mul_lo_u32 v3, v3, 24
	v_mul_hi_u32 v4, v2, 24
	v_mul_lo_u32 v2, v2, 24
	v_add_u32_e32 v3, v4, v3
	v_add_co_u32_e32 v4, vcc, v0, v2
	v_addc_co_u32_e32 v5, vcc, v1, v3, vcc
	global_store_dwordx2 v[4:5], v[13:14], off
	s_waitcnt vmcnt(0)
	global_atomic_cmpswap_x2 v[2:3], v6, v[11:14], s[6:7] offset:32 glc
	s_waitcnt vmcnt(0)
	v_cmp_ne_u64_e32 vcc, v[2:3], v[13:14]
	s_and_saveexec_b64 s[14:15], vcc
	s_cbranch_execz .LBB3_12
; %bb.10:
	s_mov_b64 s[16:17], 0
.LBB3_11:                               ; =>This Inner Loop Header: Depth=1
	s_sleep 1
	global_store_dwordx2 v[4:5], v[2:3], off
	v_mov_b32_e32 v0, s10
	v_mov_b32_e32 v1, s11
	s_waitcnt vmcnt(0)
	global_atomic_cmpswap_x2 v[0:1], v6, v[0:3], s[6:7] offset:32 glc
	s_waitcnt vmcnt(0)
	v_cmp_eq_u64_e32 vcc, v[0:1], v[2:3]
	v_mov_b32_e32 v3, v1
	s_or_b64 s[16:17], vcc, s[16:17]
	v_mov_b32_e32 v2, v0
	s_andn2_b64 exec, exec, s[16:17]
	s_cbranch_execnz .LBB3_11
.LBB3_12:
	s_or_b64 exec, exec, s[14:15]
	v_mov_b32_e32 v3, 0
	global_load_dwordx2 v[0:1], v3, s[6:7] offset:16
	s_mov_b64 s[14:15], exec
	v_mbcnt_lo_u32_b32 v2, s14, 0
	v_mbcnt_hi_u32_b32 v2, s15, v2
	v_cmp_eq_u32_e32 vcc, 0, v2
	s_and_saveexec_b64 s[16:17], vcc
	s_cbranch_execz .LBB3_14
; %bb.13:
	s_bcnt1_i32_b64 s14, s[14:15]
	v_mov_b32_e32 v2, s14
	s_waitcnt vmcnt(0)
	global_atomic_add_x2 v[0:1], v[2:3], off offset:8
.LBB3_14:
	s_or_b64 exec, exec, s[16:17]
	s_waitcnt vmcnt(0)
	global_load_dwordx2 v[2:3], v[0:1], off offset:16
	s_waitcnt vmcnt(0)
	v_cmp_eq_u64_e32 vcc, 0, v[2:3]
	s_cbranch_vccnz .LBB3_16
; %bb.15:
	global_load_dword v0, v[0:1], off offset:24
	v_mov_b32_e32 v1, 0
	s_waitcnt vmcnt(0)
	v_readfirstlane_b32 s14, v0
	s_and_b32 m0, s14, 0xffffff
	global_store_dwordx2 v[2:3], v[0:1], off
	s_sendmsg sendmsg(MSG_INTERRUPT)
.LBB3_16:
	s_or_b64 exec, exec, s[12:13]
	s_branch .LBB3_20
.LBB3_17:                               ;   in Loop: Header=BB3_20 Depth=1
	s_or_b64 exec, exec, s[12:13]
	v_readfirstlane_b32 s12, v0
	s_cmp_eq_u32 s12, 0
	s_cbranch_scc1 .LBB3_19
; %bb.18:                               ;   in Loop: Header=BB3_20 Depth=1
	s_sleep 1
	s_cbranch_execnz .LBB3_20
	s_branch .LBB3_22
.LBB3_19:
	s_branch .LBB3_22
.LBB3_20:                               ; =>This Inner Loop Header: Depth=1
	v_mov_b32_e32 v0, 1
	s_and_saveexec_b64 s[12:13], s[4:5]
	s_cbranch_execz .LBB3_17
; %bb.21:                               ;   in Loop: Header=BB3_20 Depth=1
	global_load_dword v0, v[7:8], off offset:20 glc
	s_waitcnt vmcnt(0)
	buffer_wbinvl1_vol
	v_and_b32_e32 v0, 1, v0
	s_branch .LBB3_17
.LBB3_22:
	global_load_dwordx2 v[4:5], v[9:10], off
	s_and_saveexec_b64 s[12:13], s[4:5]
	s_cbranch_execz .LBB3_25
; %bb.23:
	v_mov_b32_e32 v8, 0
	global_load_dwordx2 v[0:1], v8, s[6:7] offset:40
	global_load_dwordx2 v[11:12], v8, s[6:7] offset:24 glc
	global_load_dwordx2 v[2:3], v8, s[6:7]
	s_waitcnt vmcnt(2)
	v_readfirstlane_b32 s14, v0
	v_readfirstlane_b32 s15, v1
	s_add_u32 s16, s14, 1
	s_addc_u32 s17, s15, 0
	s_add_u32 s4, s16, s10
	s_addc_u32 s5, s17, s11
	s_cmp_eq_u64 s[4:5], 0
	s_cselect_b32 s5, s17, s5
	s_cselect_b32 s4, s16, s4
	s_and_b64 s[10:11], s[4:5], s[14:15]
	s_mul_i32 s11, s11, 24
	s_mul_hi_u32 s14, s10, 24
	s_mul_i32 s10, s10, 24
	s_add_i32 s11, s14, s11
	v_mov_b32_e32 v0, s11
	s_waitcnt vmcnt(0)
	v_add_co_u32_e32 v6, vcc, s10, v2
	v_addc_co_u32_e32 v7, vcc, v3, v0, vcc
	v_mov_b32_e32 v9, s4
	global_store_dwordx2 v[6:7], v[11:12], off
	v_mov_b32_e32 v10, s5
	s_waitcnt vmcnt(0)
	global_atomic_cmpswap_x2 v[2:3], v8, v[9:12], s[6:7] offset:24 glc
	s_mov_b64 s[10:11], 0
	s_waitcnt vmcnt(0)
	v_cmp_ne_u64_e32 vcc, v[2:3], v[11:12]
	s_and_b64 exec, exec, vcc
	s_cbranch_execz .LBB3_25
.LBB3_24:                               ; =>This Inner Loop Header: Depth=1
	s_sleep 1
	global_store_dwordx2 v[6:7], v[2:3], off
	v_mov_b32_e32 v0, s4
	v_mov_b32_e32 v1, s5
	s_waitcnt vmcnt(0)
	global_atomic_cmpswap_x2 v[0:1], v8, v[0:3], s[6:7] offset:24 glc
	s_waitcnt vmcnt(0)
	v_cmp_eq_u64_e32 vcc, v[0:1], v[2:3]
	v_mov_b32_e32 v3, v1
	s_or_b64 s[10:11], vcc, s[10:11]
	v_mov_b32_e32 v2, v0
	s_andn2_b64 exec, exec, s[10:11]
	s_cbranch_execnz .LBB3_24
.LBB3_25:
	s_or_b64 exec, exec, s[12:13]
	s_getpc_b64 s[10:11]
	s_add_u32 s10, s10, .str.2@rel32@lo+4
	s_addc_u32 s11, s11, .str.2@rel32@hi+12
	s_cmp_lg_u64 s[10:11], 0
	s_cbranch_scc0 .LBB3_110
; %bb.26:
	s_waitcnt vmcnt(0)
	v_and_b32_e32 v31, 2, v4
	v_mov_b32_e32 v26, 0
	v_and_b32_e32 v0, -3, v4
	v_mov_b32_e32 v1, v5
	s_mov_b64 s[12:13], 0x4d
	v_mov_b32_e32 v8, 2
	v_mov_b32_e32 v9, 1
	s_branch .LBB3_28
.LBB3_27:                               ;   in Loop: Header=BB3_28 Depth=1
	s_or_b64 exec, exec, s[18:19]
	s_sub_u32 s12, s12, s14
	s_subb_u32 s13, s13, s15
	s_add_u32 s10, s10, s14
	s_addc_u32 s11, s11, s15
	s_cmp_lg_u64 s[12:13], 0
	s_cbranch_scc0 .LBB3_111
.LBB3_28:                               ; =>This Loop Header: Depth=1
                                        ;     Child Loop BB3_31 Depth 2
                                        ;     Child Loop BB3_39 Depth 2
                                        ;     Child Loop BB3_47 Depth 2
                                        ;     Child Loop BB3_55 Depth 2
                                        ;     Child Loop BB3_63 Depth 2
                                        ;     Child Loop BB3_71 Depth 2
                                        ;     Child Loop BB3_79 Depth 2
                                        ;     Child Loop BB3_87 Depth 2
                                        ;     Child Loop BB3_95 Depth 2
                                        ;     Child Loop BB3_104 Depth 2
                                        ;     Child Loop BB3_109 Depth 2
	v_cmp_lt_u64_e64 s[4:5], s[12:13], 56
	v_cmp_gt_u64_e64 s[16:17], s[12:13], 7
	s_and_b64 s[4:5], s[4:5], exec
	s_cselect_b32 s15, s13, 0
	s_cselect_b32 s14, s12, 56
	s_add_u32 s4, s10, 8
	s_addc_u32 s5, s11, 0
	s_and_b64 vcc, exec, s[16:17]
	s_cbranch_vccnz .LBB3_32
; %bb.29:                               ;   in Loop: Header=BB3_28 Depth=1
	s_cmp_eq_u64 s[12:13], 0
	s_cbranch_scc1 .LBB3_33
; %bb.30:                               ;   in Loop: Header=BB3_28 Depth=1
	v_mov_b32_e32 v2, 0
	s_lshl_b64 s[4:5], s[14:15], 3
	s_mov_b64 s[16:17], 0
	v_mov_b32_e32 v3, 0
	s_mov_b64 s[18:19], s[10:11]
.LBB3_31:                               ;   Parent Loop BB3_28 Depth=1
                                        ; =>  This Inner Loop Header: Depth=2
	global_load_ubyte v6, v26, s[18:19]
	s_waitcnt vmcnt(0)
	v_and_b32_e32 v25, 0xffff, v6
	v_lshlrev_b64 v[6:7], s16, v[25:26]
	s_add_u32 s16, s16, 8
	s_addc_u32 s17, s17, 0
	s_add_u32 s18, s18, 1
	s_addc_u32 s19, s19, 0
	v_or_b32_e32 v2, v6, v2
	s_cmp_lg_u32 s4, s16
	v_or_b32_e32 v3, v7, v3
	s_cbranch_scc1 .LBB3_31
	s_branch .LBB3_34
.LBB3_32:                               ;   in Loop: Header=BB3_28 Depth=1
	s_mov_b32 s20, 0
	s_branch .LBB3_35
.LBB3_33:                               ;   in Loop: Header=BB3_28 Depth=1
	v_mov_b32_e32 v2, 0
	v_mov_b32_e32 v3, 0
.LBB3_34:                               ;   in Loop: Header=BB3_28 Depth=1
	s_mov_b64 s[4:5], s[10:11]
	s_mov_b32 s20, 0
	s_cbranch_execnz .LBB3_36
.LBB3_35:                               ;   in Loop: Header=BB3_28 Depth=1
	global_load_dwordx2 v[2:3], v26, s[10:11]
	s_add_i32 s20, s14, -8
.LBB3_36:                               ;   in Loop: Header=BB3_28 Depth=1
	s_add_u32 s16, s4, 8
	s_addc_u32 s17, s5, 0
	s_cmp_gt_u32 s20, 7
	s_cbranch_scc1 .LBB3_40
; %bb.37:                               ;   in Loop: Header=BB3_28 Depth=1
	s_cmp_eq_u32 s20, 0
	s_cbranch_scc1 .LBB3_41
; %bb.38:                               ;   in Loop: Header=BB3_28 Depth=1
	v_mov_b32_e32 v10, 0
	s_mov_b64 s[16:17], 0
	v_mov_b32_e32 v11, 0
	s_mov_b64 s[18:19], 0
.LBB3_39:                               ;   Parent Loop BB3_28 Depth=1
                                        ; =>  This Inner Loop Header: Depth=2
	s_add_u32 s22, s4, s18
	s_addc_u32 s23, s5, s19
	global_load_ubyte v6, v26, s[22:23]
	s_add_u32 s18, s18, 1
	s_addc_u32 s19, s19, 0
	s_waitcnt vmcnt(0)
	v_and_b32_e32 v25, 0xffff, v6
	v_lshlrev_b64 v[6:7], s16, v[25:26]
	s_add_u32 s16, s16, 8
	s_addc_u32 s17, s17, 0
	v_or_b32_e32 v10, v6, v10
	s_cmp_lg_u32 s20, s18
	v_or_b32_e32 v11, v7, v11
	s_cbranch_scc1 .LBB3_39
	s_branch .LBB3_42
.LBB3_40:                               ;   in Loop: Header=BB3_28 Depth=1
                                        ; implicit-def: $vgpr10_vgpr11
	s_mov_b32 s21, 0
	s_branch .LBB3_43
.LBB3_41:                               ;   in Loop: Header=BB3_28 Depth=1
	v_mov_b32_e32 v10, 0
	v_mov_b32_e32 v11, 0
.LBB3_42:                               ;   in Loop: Header=BB3_28 Depth=1
	s_mov_b64 s[16:17], s[4:5]
	s_mov_b32 s21, 0
	s_cbranch_execnz .LBB3_44
.LBB3_43:                               ;   in Loop: Header=BB3_28 Depth=1
	global_load_dwordx2 v[10:11], v26, s[4:5]
	s_add_i32 s21, s20, -8
.LBB3_44:                               ;   in Loop: Header=BB3_28 Depth=1
	s_add_u32 s4, s16, 8
	s_addc_u32 s5, s17, 0
	s_cmp_gt_u32 s21, 7
	s_cbranch_scc1 .LBB3_48
; %bb.45:                               ;   in Loop: Header=BB3_28 Depth=1
	s_cmp_eq_u32 s21, 0
	s_cbranch_scc1 .LBB3_49
; %bb.46:                               ;   in Loop: Header=BB3_28 Depth=1
	v_mov_b32_e32 v12, 0
	s_mov_b64 s[4:5], 0
	v_mov_b32_e32 v13, 0
	s_mov_b64 s[18:19], 0
.LBB3_47:                               ;   Parent Loop BB3_28 Depth=1
                                        ; =>  This Inner Loop Header: Depth=2
	s_add_u32 s22, s16, s18
	s_addc_u32 s23, s17, s19
	global_load_ubyte v6, v26, s[22:23]
	s_add_u32 s18, s18, 1
	s_addc_u32 s19, s19, 0
	s_waitcnt vmcnt(0)
	v_and_b32_e32 v25, 0xffff, v6
	v_lshlrev_b64 v[6:7], s4, v[25:26]
	s_add_u32 s4, s4, 8
	s_addc_u32 s5, s5, 0
	v_or_b32_e32 v12, v6, v12
	s_cmp_lg_u32 s21, s18
	v_or_b32_e32 v13, v7, v13
	s_cbranch_scc1 .LBB3_47
	s_branch .LBB3_50
.LBB3_48:                               ;   in Loop: Header=BB3_28 Depth=1
	s_mov_b32 s20, 0
	s_branch .LBB3_51
.LBB3_49:                               ;   in Loop: Header=BB3_28 Depth=1
	v_mov_b32_e32 v12, 0
	v_mov_b32_e32 v13, 0
.LBB3_50:                               ;   in Loop: Header=BB3_28 Depth=1
	s_mov_b64 s[4:5], s[16:17]
	s_mov_b32 s20, 0
	s_cbranch_execnz .LBB3_52
.LBB3_51:                               ;   in Loop: Header=BB3_28 Depth=1
	global_load_dwordx2 v[12:13], v26, s[16:17]
	s_add_i32 s20, s21, -8
.LBB3_52:                               ;   in Loop: Header=BB3_28 Depth=1
	s_add_u32 s16, s4, 8
	s_addc_u32 s17, s5, 0
	s_cmp_gt_u32 s20, 7
	s_cbranch_scc1 .LBB3_56
; %bb.53:                               ;   in Loop: Header=BB3_28 Depth=1
	s_cmp_eq_u32 s20, 0
	s_cbranch_scc1 .LBB3_57
; %bb.54:                               ;   in Loop: Header=BB3_28 Depth=1
	v_mov_b32_e32 v14, 0
	s_mov_b64 s[16:17], 0
	v_mov_b32_e32 v15, 0
	s_mov_b64 s[18:19], 0
.LBB3_55:                               ;   Parent Loop BB3_28 Depth=1
                                        ; =>  This Inner Loop Header: Depth=2
	s_add_u32 s22, s4, s18
	s_addc_u32 s23, s5, s19
	global_load_ubyte v6, v26, s[22:23]
	s_add_u32 s18, s18, 1
	s_addc_u32 s19, s19, 0
	s_waitcnt vmcnt(0)
	v_and_b32_e32 v25, 0xffff, v6
	v_lshlrev_b64 v[6:7], s16, v[25:26]
	s_add_u32 s16, s16, 8
	s_addc_u32 s17, s17, 0
	v_or_b32_e32 v14, v6, v14
	s_cmp_lg_u32 s20, s18
	v_or_b32_e32 v15, v7, v15
	s_cbranch_scc1 .LBB3_55
	s_branch .LBB3_58
.LBB3_56:                               ;   in Loop: Header=BB3_28 Depth=1
                                        ; implicit-def: $vgpr14_vgpr15
	s_mov_b32 s21, 0
	s_branch .LBB3_59
.LBB3_57:                               ;   in Loop: Header=BB3_28 Depth=1
	v_mov_b32_e32 v14, 0
	v_mov_b32_e32 v15, 0
.LBB3_58:                               ;   in Loop: Header=BB3_28 Depth=1
	s_mov_b64 s[16:17], s[4:5]
	s_mov_b32 s21, 0
	s_cbranch_execnz .LBB3_60
.LBB3_59:                               ;   in Loop: Header=BB3_28 Depth=1
	global_load_dwordx2 v[14:15], v26, s[4:5]
	s_add_i32 s21, s20, -8
.LBB3_60:                               ;   in Loop: Header=BB3_28 Depth=1
	s_add_u32 s4, s16, 8
	s_addc_u32 s5, s17, 0
	s_cmp_gt_u32 s21, 7
	s_cbranch_scc1 .LBB3_64
; %bb.61:                               ;   in Loop: Header=BB3_28 Depth=1
	s_cmp_eq_u32 s21, 0
	s_cbranch_scc1 .LBB3_65
; %bb.62:                               ;   in Loop: Header=BB3_28 Depth=1
	v_mov_b32_e32 v16, 0
	s_mov_b64 s[4:5], 0
	v_mov_b32_e32 v17, 0
	s_mov_b64 s[18:19], 0
.LBB3_63:                               ;   Parent Loop BB3_28 Depth=1
                                        ; =>  This Inner Loop Header: Depth=2
	s_add_u32 s22, s16, s18
	s_addc_u32 s23, s17, s19
	global_load_ubyte v6, v26, s[22:23]
	s_add_u32 s18, s18, 1
	s_addc_u32 s19, s19, 0
	s_waitcnt vmcnt(0)
	v_and_b32_e32 v25, 0xffff, v6
	v_lshlrev_b64 v[6:7], s4, v[25:26]
	s_add_u32 s4, s4, 8
	s_addc_u32 s5, s5, 0
	v_or_b32_e32 v16, v6, v16
	s_cmp_lg_u32 s21, s18
	v_or_b32_e32 v17, v7, v17
	s_cbranch_scc1 .LBB3_63
	s_branch .LBB3_66
.LBB3_64:                               ;   in Loop: Header=BB3_28 Depth=1
	s_mov_b32 s20, 0
	s_branch .LBB3_67
.LBB3_65:                               ;   in Loop: Header=BB3_28 Depth=1
	v_mov_b32_e32 v16, 0
	v_mov_b32_e32 v17, 0
.LBB3_66:                               ;   in Loop: Header=BB3_28 Depth=1
	s_mov_b64 s[4:5], s[16:17]
	s_mov_b32 s20, 0
	s_cbranch_execnz .LBB3_68
.LBB3_67:                               ;   in Loop: Header=BB3_28 Depth=1
	global_load_dwordx2 v[16:17], v26, s[16:17]
	s_add_i32 s20, s21, -8
.LBB3_68:                               ;   in Loop: Header=BB3_28 Depth=1
	s_add_u32 s16, s4, 8
	s_addc_u32 s17, s5, 0
	s_cmp_gt_u32 s20, 7
	s_cbranch_scc1 .LBB3_72
; %bb.69:                               ;   in Loop: Header=BB3_28 Depth=1
	s_cmp_eq_u32 s20, 0
	s_cbranch_scc1 .LBB3_73
; %bb.70:                               ;   in Loop: Header=BB3_28 Depth=1
	v_mov_b32_e32 v18, 0
	s_mov_b64 s[16:17], 0
	v_mov_b32_e32 v19, 0
	s_mov_b64 s[18:19], 0
.LBB3_71:                               ;   Parent Loop BB3_28 Depth=1
                                        ; =>  This Inner Loop Header: Depth=2
	s_add_u32 s22, s4, s18
	s_addc_u32 s23, s5, s19
	global_load_ubyte v6, v26, s[22:23]
	s_add_u32 s18, s18, 1
	s_addc_u32 s19, s19, 0
	s_waitcnt vmcnt(0)
	v_and_b32_e32 v25, 0xffff, v6
	v_lshlrev_b64 v[6:7], s16, v[25:26]
	s_add_u32 s16, s16, 8
	s_addc_u32 s17, s17, 0
	v_or_b32_e32 v18, v6, v18
	s_cmp_lg_u32 s20, s18
	v_or_b32_e32 v19, v7, v19
	s_cbranch_scc1 .LBB3_71
	s_branch .LBB3_74
.LBB3_72:                               ;   in Loop: Header=BB3_28 Depth=1
                                        ; implicit-def: $vgpr18_vgpr19
	s_mov_b32 s21, 0
	s_branch .LBB3_75
.LBB3_73:                               ;   in Loop: Header=BB3_28 Depth=1
	v_mov_b32_e32 v18, 0
	v_mov_b32_e32 v19, 0
.LBB3_74:                               ;   in Loop: Header=BB3_28 Depth=1
	s_mov_b64 s[16:17], s[4:5]
	s_mov_b32 s21, 0
	s_cbranch_execnz .LBB3_76
.LBB3_75:                               ;   in Loop: Header=BB3_28 Depth=1
	global_load_dwordx2 v[18:19], v26, s[4:5]
	s_add_i32 s21, s20, -8
.LBB3_76:                               ;   in Loop: Header=BB3_28 Depth=1
	s_cmp_gt_u32 s21, 7
	s_cbranch_scc1 .LBB3_80
; %bb.77:                               ;   in Loop: Header=BB3_28 Depth=1
	s_cmp_eq_u32 s21, 0
	s_cbranch_scc1 .LBB3_81
; %bb.78:                               ;   in Loop: Header=BB3_28 Depth=1
	v_mov_b32_e32 v20, 0
	s_mov_b64 s[4:5], 0
	v_mov_b32_e32 v21, 0
	s_mov_b64 s[18:19], s[16:17]
.LBB3_79:                               ;   Parent Loop BB3_28 Depth=1
                                        ; =>  This Inner Loop Header: Depth=2
	global_load_ubyte v6, v26, s[18:19]
	s_add_i32 s21, s21, -1
	s_waitcnt vmcnt(0)
	v_and_b32_e32 v25, 0xffff, v6
	v_lshlrev_b64 v[6:7], s4, v[25:26]
	s_add_u32 s4, s4, 8
	s_addc_u32 s5, s5, 0
	s_add_u32 s18, s18, 1
	s_addc_u32 s19, s19, 0
	v_or_b32_e32 v20, v6, v20
	s_cmp_lg_u32 s21, 0
	v_or_b32_e32 v21, v7, v21
	s_cbranch_scc1 .LBB3_79
	s_branch .LBB3_82
.LBB3_80:                               ;   in Loop: Header=BB3_28 Depth=1
	s_branch .LBB3_83
.LBB3_81:                               ;   in Loop: Header=BB3_28 Depth=1
	v_mov_b32_e32 v20, 0
	v_mov_b32_e32 v21, 0
.LBB3_82:                               ;   in Loop: Header=BB3_28 Depth=1
	s_cbranch_execnz .LBB3_84
.LBB3_83:                               ;   in Loop: Header=BB3_28 Depth=1
	global_load_dwordx2 v[20:21], v26, s[16:17]
.LBB3_84:                               ;   in Loop: Header=BB3_28 Depth=1
	v_readfirstlane_b32 s4, v30
	v_mov_b32_e32 v6, 0
	v_mov_b32_e32 v7, 0
	v_cmp_eq_u32_e64 s[4:5], s4, v30
	s_and_saveexec_b64 s[16:17], s[4:5]
	s_cbranch_execz .LBB3_90
; %bb.85:                               ;   in Loop: Header=BB3_28 Depth=1
	global_load_dwordx2 v[24:25], v26, s[6:7] offset:24 glc
	s_waitcnt vmcnt(0)
	buffer_wbinvl1_vol
	global_load_dwordx2 v[6:7], v26, s[6:7] offset:40
	global_load_dwordx2 v[22:23], v26, s[6:7]
	s_waitcnt vmcnt(1)
	v_and_b32_e32 v6, v6, v24
	v_and_b32_e32 v7, v7, v25
	v_mul_lo_u32 v7, v7, 24
	v_mul_hi_u32 v27, v6, 24
	v_mul_lo_u32 v6, v6, 24
	v_add_u32_e32 v7, v27, v7
	s_waitcnt vmcnt(0)
	v_add_co_u32_e32 v6, vcc, v22, v6
	v_addc_co_u32_e32 v7, vcc, v23, v7, vcc
	global_load_dwordx2 v[22:23], v[6:7], off glc
	s_waitcnt vmcnt(0)
	global_atomic_cmpswap_x2 v[6:7], v26, v[22:25], s[6:7] offset:24 glc
	s_waitcnt vmcnt(0)
	buffer_wbinvl1_vol
	v_cmp_ne_u64_e32 vcc, v[6:7], v[24:25]
	s_and_saveexec_b64 s[18:19], vcc
	s_cbranch_execz .LBB3_89
; %bb.86:                               ;   in Loop: Header=BB3_28 Depth=1
	s_mov_b64 s[20:21], 0
.LBB3_87:                               ;   Parent Loop BB3_28 Depth=1
                                        ; =>  This Inner Loop Header: Depth=2
	s_sleep 1
	global_load_dwordx2 v[22:23], v26, s[6:7] offset:40
	global_load_dwordx2 v[27:28], v26, s[6:7]
	v_mov_b32_e32 v25, v7
	v_mov_b32_e32 v24, v6
	s_waitcnt vmcnt(1)
	v_and_b32_e32 v6, v22, v24
	s_waitcnt vmcnt(0)
	v_mad_u64_u32 v[6:7], s[22:23], v6, 24, v[27:28]
	v_and_b32_e32 v22, v23, v25
	v_mad_u64_u32 v[22:23], s[22:23], v22, 24, v[7:8]
	v_mov_b32_e32 v7, v22
	global_load_dwordx2 v[22:23], v[6:7], off glc
	s_waitcnt vmcnt(0)
	global_atomic_cmpswap_x2 v[6:7], v26, v[22:25], s[6:7] offset:24 glc
	s_waitcnt vmcnt(0)
	buffer_wbinvl1_vol
	v_cmp_eq_u64_e32 vcc, v[6:7], v[24:25]
	s_or_b64 s[20:21], vcc, s[20:21]
	s_andn2_b64 exec, exec, s[20:21]
	s_cbranch_execnz .LBB3_87
; %bb.88:                               ;   in Loop: Header=BB3_28 Depth=1
	s_or_b64 exec, exec, s[20:21]
.LBB3_89:                               ;   in Loop: Header=BB3_28 Depth=1
	s_or_b64 exec, exec, s[18:19]
.LBB3_90:                               ;   in Loop: Header=BB3_28 Depth=1
	s_or_b64 exec, exec, s[16:17]
	global_load_dwordx2 v[27:28], v26, s[6:7] offset:40
	global_load_dwordx4 v[22:25], v26, s[6:7]
	v_readfirstlane_b32 s17, v7
	v_readfirstlane_b32 s16, v6
	s_mov_b64 s[18:19], exec
	s_waitcnt vmcnt(1)
	v_readfirstlane_b32 s20, v27
	v_readfirstlane_b32 s21, v28
	s_and_b64 s[20:21], s[20:21], s[16:17]
	s_mul_i32 s22, s21, 24
	s_mul_hi_u32 s23, s20, 24
	s_mul_i32 s24, s20, 24
	s_add_i32 s22, s23, s22
	v_mov_b32_e32 v6, s22
	s_waitcnt vmcnt(0)
	v_add_co_u32_e32 v27, vcc, s24, v22
	v_addc_co_u32_e32 v28, vcc, v23, v6, vcc
	s_and_saveexec_b64 s[22:23], s[4:5]
	s_cbranch_execz .LBB3_92
; %bb.91:                               ;   in Loop: Header=BB3_28 Depth=1
	v_mov_b32_e32 v6, s18
	v_mov_b32_e32 v7, s19
	global_store_dwordx4 v[27:28], v[6:9], off offset:8
.LBB3_92:                               ;   in Loop: Header=BB3_28 Depth=1
	s_or_b64 exec, exec, s[22:23]
	s_lshl_b64 s[18:19], s[20:21], 12
	v_mov_b32_e32 v6, s19
	v_add_co_u32_e32 v24, vcc, s18, v24
	v_addc_co_u32_e32 v32, vcc, v25, v6, vcc
	v_cmp_lt_u64_e64 vcc, s[12:13], 57
	s_lshl_b32 s18, s14, 2
	v_cndmask_b32_e32 v6, 0, v31, vcc
	s_add_i32 s18, s18, 28
	v_and_b32_e32 v0, 0xffffff1f, v0
	s_and_b32 s18, s18, 0x1e0
	v_or_b32_e32 v0, v0, v6
	v_or_b32_e32 v0, s18, v0
	v_readfirstlane_b32 s18, v24
	v_readfirstlane_b32 s19, v32
	s_nop 4
	global_store_dwordx4 v29, v[0:3], s[18:19]
	global_store_dwordx4 v29, v[10:13], s[18:19] offset:16
	global_store_dwordx4 v29, v[14:17], s[18:19] offset:32
	;; [unrolled: 1-line block ×3, first 2 shown]
	s_and_saveexec_b64 s[18:19], s[4:5]
	s_cbranch_execz .LBB3_100
; %bb.93:                               ;   in Loop: Header=BB3_28 Depth=1
	global_load_dwordx2 v[12:13], v26, s[6:7] offset:32 glc
	global_load_dwordx2 v[0:1], v26, s[6:7] offset:40
	v_mov_b32_e32 v10, s16
	v_mov_b32_e32 v11, s17
	s_waitcnt vmcnt(0)
	v_readfirstlane_b32 s20, v0
	v_readfirstlane_b32 s21, v1
	s_and_b64 s[20:21], s[20:21], s[16:17]
	s_mul_i32 s21, s21, 24
	s_mul_hi_u32 s22, s20, 24
	s_mul_i32 s20, s20, 24
	s_add_i32 s21, s22, s21
	v_mov_b32_e32 v0, s21
	v_add_co_u32_e32 v6, vcc, s20, v22
	v_addc_co_u32_e32 v7, vcc, v23, v0, vcc
	global_store_dwordx2 v[6:7], v[12:13], off
	s_waitcnt vmcnt(0)
	global_atomic_cmpswap_x2 v[2:3], v26, v[10:13], s[6:7] offset:32 glc
	s_waitcnt vmcnt(0)
	v_cmp_ne_u64_e32 vcc, v[2:3], v[12:13]
	s_and_saveexec_b64 s[20:21], vcc
	s_cbranch_execz .LBB3_96
; %bb.94:                               ;   in Loop: Header=BB3_28 Depth=1
	s_mov_b64 s[22:23], 0
.LBB3_95:                               ;   Parent Loop BB3_28 Depth=1
                                        ; =>  This Inner Loop Header: Depth=2
	s_sleep 1
	global_store_dwordx2 v[6:7], v[2:3], off
	v_mov_b32_e32 v0, s16
	v_mov_b32_e32 v1, s17
	s_waitcnt vmcnt(0)
	global_atomic_cmpswap_x2 v[0:1], v26, v[0:3], s[6:7] offset:32 glc
	s_waitcnt vmcnt(0)
	v_cmp_eq_u64_e32 vcc, v[0:1], v[2:3]
	v_mov_b32_e32 v3, v1
	s_or_b64 s[22:23], vcc, s[22:23]
	v_mov_b32_e32 v2, v0
	s_andn2_b64 exec, exec, s[22:23]
	s_cbranch_execnz .LBB3_95
.LBB3_96:                               ;   in Loop: Header=BB3_28 Depth=1
	s_or_b64 exec, exec, s[20:21]
	global_load_dwordx2 v[0:1], v26, s[6:7] offset:16
	s_mov_b64 s[22:23], exec
	v_mbcnt_lo_u32_b32 v2, s22, 0
	v_mbcnt_hi_u32_b32 v2, s23, v2
	v_cmp_eq_u32_e32 vcc, 0, v2
	s_and_saveexec_b64 s[20:21], vcc
	s_cbranch_execz .LBB3_98
; %bb.97:                               ;   in Loop: Header=BB3_28 Depth=1
	s_bcnt1_i32_b64 s22, s[22:23]
	v_mov_b32_e32 v25, s22
	s_waitcnt vmcnt(0)
	global_atomic_add_x2 v[0:1], v[25:26], off offset:8
.LBB3_98:                               ;   in Loop: Header=BB3_28 Depth=1
	s_or_b64 exec, exec, s[20:21]
	s_waitcnt vmcnt(0)
	global_load_dwordx2 v[2:3], v[0:1], off offset:16
	s_waitcnt vmcnt(0)
	v_cmp_eq_u64_e32 vcc, 0, v[2:3]
	s_cbranch_vccnz .LBB3_100
; %bb.99:                               ;   in Loop: Header=BB3_28 Depth=1
	global_load_dword v25, v[0:1], off offset:24
	s_waitcnt vmcnt(0)
	v_readfirstlane_b32 s20, v25
	s_and_b32 m0, s20, 0xffffff
	global_store_dwordx2 v[2:3], v[25:26], off
	s_sendmsg sendmsg(MSG_INTERRUPT)
.LBB3_100:                              ;   in Loop: Header=BB3_28 Depth=1
	s_or_b64 exec, exec, s[18:19]
	v_add_co_u32_e32 v0, vcc, v24, v29
	v_addc_co_u32_e32 v1, vcc, 0, v32, vcc
	s_branch .LBB3_104
.LBB3_101:                              ;   in Loop: Header=BB3_104 Depth=2
	s_or_b64 exec, exec, s[18:19]
	v_readfirstlane_b32 s18, v2
	s_cmp_eq_u32 s18, 0
	s_cbranch_scc1 .LBB3_103
; %bb.102:                              ;   in Loop: Header=BB3_104 Depth=2
	s_sleep 1
	s_cbranch_execnz .LBB3_104
	s_branch .LBB3_106
.LBB3_103:                              ;   in Loop: Header=BB3_28 Depth=1
	s_branch .LBB3_106
.LBB3_104:                              ;   Parent Loop BB3_28 Depth=1
                                        ; =>  This Inner Loop Header: Depth=2
	v_mov_b32_e32 v2, 1
	s_and_saveexec_b64 s[18:19], s[4:5]
	s_cbranch_execz .LBB3_101
; %bb.105:                              ;   in Loop: Header=BB3_104 Depth=2
	global_load_dword v2, v[27:28], off offset:20 glc
	s_waitcnt vmcnt(0)
	buffer_wbinvl1_vol
	v_and_b32_e32 v2, 1, v2
	s_branch .LBB3_101
.LBB3_106:                              ;   in Loop: Header=BB3_28 Depth=1
	global_load_dwordx2 v[0:1], v[0:1], off
	s_and_saveexec_b64 s[18:19], s[4:5]
	s_cbranch_execz .LBB3_27
; %bb.107:                              ;   in Loop: Header=BB3_28 Depth=1
	global_load_dwordx2 v[2:3], v26, s[6:7] offset:40
	global_load_dwordx2 v[14:15], v26, s[6:7] offset:24 glc
	global_load_dwordx2 v[6:7], v26, s[6:7]
	s_waitcnt vmcnt(2)
	v_readfirstlane_b32 s20, v2
	v_readfirstlane_b32 s21, v3
	s_add_u32 s22, s20, 1
	s_addc_u32 s23, s21, 0
	s_add_u32 s4, s22, s16
	s_addc_u32 s5, s23, s17
	s_cmp_eq_u64 s[4:5], 0
	s_cselect_b32 s5, s23, s5
	s_cselect_b32 s4, s22, s4
	s_and_b64 s[16:17], s[4:5], s[20:21]
	s_mul_i32 s17, s17, 24
	s_mul_hi_u32 s20, s16, 24
	s_mul_i32 s16, s16, 24
	s_add_i32 s17, s20, s17
	v_mov_b32_e32 v3, s17
	s_waitcnt vmcnt(0)
	v_add_co_u32_e32 v2, vcc, s16, v6
	v_addc_co_u32_e32 v3, vcc, v7, v3, vcc
	v_mov_b32_e32 v12, s4
	global_store_dwordx2 v[2:3], v[14:15], off
	v_mov_b32_e32 v13, s5
	s_waitcnt vmcnt(0)
	global_atomic_cmpswap_x2 v[12:13], v26, v[12:15], s[6:7] offset:24 glc
	s_waitcnt vmcnt(0)
	v_cmp_ne_u64_e32 vcc, v[12:13], v[14:15]
	s_and_b64 exec, exec, vcc
	s_cbranch_execz .LBB3_27
; %bb.108:                              ;   in Loop: Header=BB3_28 Depth=1
	s_mov_b64 s[16:17], 0
.LBB3_109:                              ;   Parent Loop BB3_28 Depth=1
                                        ; =>  This Inner Loop Header: Depth=2
	s_sleep 1
	global_store_dwordx2 v[2:3], v[12:13], off
	v_mov_b32_e32 v10, s4
	v_mov_b32_e32 v11, s5
	s_waitcnt vmcnt(0)
	global_atomic_cmpswap_x2 v[6:7], v26, v[10:13], s[6:7] offset:24 glc
	s_waitcnt vmcnt(0)
	v_cmp_eq_u64_e32 vcc, v[6:7], v[12:13]
	v_mov_b32_e32 v13, v7
	s_or_b64 s[16:17], vcc, s[16:17]
	v_mov_b32_e32 v12, v6
	s_andn2_b64 exec, exec, s[16:17]
	s_cbranch_execnz .LBB3_109
	s_branch .LBB3_27
.LBB3_110:
                                        ; implicit-def: $vgpr0_vgpr1
	s_cbranch_execnz .LBB3_112
	s_branch .LBB3_138
.LBB3_111:
	s_branch .LBB3_138
.LBB3_112:
	v_readfirstlane_b32 s4, v30
	v_mov_b32_e32 v7, 0
	v_mov_b32_e32 v8, 0
	v_cmp_eq_u32_e64 s[4:5], s4, v30
	s_and_saveexec_b64 s[10:11], s[4:5]
	s_cbranch_execz .LBB3_118
; %bb.113:
	s_waitcnt vmcnt(0)
	v_mov_b32_e32 v0, 0
	global_load_dwordx2 v[9:10], v0, s[6:7] offset:24 glc
	s_waitcnt vmcnt(0)
	buffer_wbinvl1_vol
	global_load_dwordx2 v[1:2], v0, s[6:7] offset:40
	global_load_dwordx2 v[6:7], v0, s[6:7]
	s_waitcnt vmcnt(1)
	v_and_b32_e32 v1, v1, v9
	v_and_b32_e32 v2, v2, v10
	v_mul_lo_u32 v2, v2, 24
	v_mul_hi_u32 v3, v1, 24
	v_mul_lo_u32 v1, v1, 24
	v_add_u32_e32 v2, v3, v2
	s_waitcnt vmcnt(0)
	v_add_co_u32_e32 v1, vcc, v6, v1
	v_addc_co_u32_e32 v2, vcc, v7, v2, vcc
	global_load_dwordx2 v[7:8], v[1:2], off glc
	s_waitcnt vmcnt(0)
	global_atomic_cmpswap_x2 v[7:8], v0, v[7:10], s[6:7] offset:24 glc
	s_waitcnt vmcnt(0)
	buffer_wbinvl1_vol
	v_cmp_ne_u64_e32 vcc, v[7:8], v[9:10]
	s_and_saveexec_b64 s[12:13], vcc
	s_cbranch_execz .LBB3_117
; %bb.114:
	s_mov_b64 s[14:15], 0
.LBB3_115:                              ; =>This Inner Loop Header: Depth=1
	s_sleep 1
	global_load_dwordx2 v[1:2], v0, s[6:7] offset:40
	global_load_dwordx2 v[11:12], v0, s[6:7]
	v_mov_b32_e32 v10, v8
	v_mov_b32_e32 v9, v7
	s_waitcnt vmcnt(1)
	v_and_b32_e32 v1, v1, v9
	s_waitcnt vmcnt(0)
	v_mad_u64_u32 v[6:7], s[16:17], v1, 24, v[11:12]
	v_and_b32_e32 v2, v2, v10
	v_mov_b32_e32 v1, v7
	v_mad_u64_u32 v[1:2], s[16:17], v2, 24, v[1:2]
	v_mov_b32_e32 v7, v1
	global_load_dwordx2 v[7:8], v[6:7], off glc
	s_waitcnt vmcnt(0)
	global_atomic_cmpswap_x2 v[7:8], v0, v[7:10], s[6:7] offset:24 glc
	s_waitcnt vmcnt(0)
	buffer_wbinvl1_vol
	v_cmp_eq_u64_e32 vcc, v[7:8], v[9:10]
	s_or_b64 s[14:15], vcc, s[14:15]
	s_andn2_b64 exec, exec, s[14:15]
	s_cbranch_execnz .LBB3_115
; %bb.116:
	s_or_b64 exec, exec, s[14:15]
.LBB3_117:
	s_or_b64 exec, exec, s[12:13]
.LBB3_118:
	s_or_b64 exec, exec, s[10:11]
	v_mov_b32_e32 v6, 0
	global_load_dwordx2 v[9:10], v6, s[6:7] offset:40
	global_load_dwordx4 v[0:3], v6, s[6:7]
	v_readfirstlane_b32 s11, v8
	v_readfirstlane_b32 s10, v7
	s_mov_b64 s[12:13], exec
	s_waitcnt vmcnt(1)
	v_readfirstlane_b32 s14, v9
	v_readfirstlane_b32 s15, v10
	s_and_b64 s[14:15], s[14:15], s[10:11]
	s_mul_i32 s16, s15, 24
	s_mul_hi_u32 s17, s14, 24
	s_mul_i32 s18, s14, 24
	s_add_i32 s16, s17, s16
	v_mov_b32_e32 v7, s16
	s_waitcnt vmcnt(0)
	v_add_co_u32_e32 v8, vcc, s18, v0
	v_addc_co_u32_e32 v9, vcc, v1, v7, vcc
	s_and_saveexec_b64 s[16:17], s[4:5]
	s_cbranch_execz .LBB3_120
; %bb.119:
	v_mov_b32_e32 v10, s12
	v_mov_b32_e32 v11, s13
	;; [unrolled: 1-line block ×4, first 2 shown]
	global_store_dwordx4 v[8:9], v[10:13], off offset:8
.LBB3_120:
	s_or_b64 exec, exec, s[16:17]
	s_lshl_b64 s[12:13], s[14:15], 12
	v_mov_b32_e32 v7, s13
	v_add_co_u32_e32 v2, vcc, s12, v2
	v_addc_co_u32_e32 v3, vcc, v3, v7, vcc
	s_movk_i32 s12, 0xff1f
	v_and_or_b32 v4, v4, s12, 32
	v_add_co_u32_e32 v10, vcc, v2, v29
	s_mov_b32 s12, 0
	v_mov_b32_e32 v7, v6
	v_readfirstlane_b32 s16, v2
	v_readfirstlane_b32 s17, v3
	v_addc_co_u32_e32 v11, vcc, 0, v3, vcc
	s_mov_b32 s13, s12
	s_mov_b32 s14, s12
	;; [unrolled: 1-line block ×3, first 2 shown]
	s_nop 0
	global_store_dwordx4 v29, v[4:7], s[16:17]
	v_mov_b32_e32 v2, s12
	v_mov_b32_e32 v3, s13
	v_mov_b32_e32 v4, s14
	v_mov_b32_e32 v5, s15
	global_store_dwordx4 v29, v[2:5], s[16:17] offset:16
	global_store_dwordx4 v29, v[2:5], s[16:17] offset:32
	global_store_dwordx4 v29, v[2:5], s[16:17] offset:48
	s_and_saveexec_b64 s[12:13], s[4:5]
	s_cbranch_execz .LBB3_128
; %bb.121:
	v_mov_b32_e32 v6, 0
	global_load_dwordx2 v[14:15], v6, s[6:7] offset:32 glc
	global_load_dwordx2 v[2:3], v6, s[6:7] offset:40
	v_mov_b32_e32 v12, s10
	v_mov_b32_e32 v13, s11
	s_waitcnt vmcnt(0)
	v_readfirstlane_b32 s14, v2
	v_readfirstlane_b32 s15, v3
	s_and_b64 s[14:15], s[14:15], s[10:11]
	s_mul_i32 s15, s15, 24
	s_mul_hi_u32 s16, s14, 24
	s_mul_i32 s14, s14, 24
	s_add_i32 s15, s16, s15
	v_mov_b32_e32 v2, s15
	v_add_co_u32_e32 v4, vcc, s14, v0
	v_addc_co_u32_e32 v5, vcc, v1, v2, vcc
	global_store_dwordx2 v[4:5], v[14:15], off
	s_waitcnt vmcnt(0)
	global_atomic_cmpswap_x2 v[2:3], v6, v[12:15], s[6:7] offset:32 glc
	s_waitcnt vmcnt(0)
	v_cmp_ne_u64_e32 vcc, v[2:3], v[14:15]
	s_and_saveexec_b64 s[14:15], vcc
	s_cbranch_execz .LBB3_124
; %bb.122:
	s_mov_b64 s[16:17], 0
.LBB3_123:                              ; =>This Inner Loop Header: Depth=1
	s_sleep 1
	global_store_dwordx2 v[4:5], v[2:3], off
	v_mov_b32_e32 v0, s10
	v_mov_b32_e32 v1, s11
	s_waitcnt vmcnt(0)
	global_atomic_cmpswap_x2 v[0:1], v6, v[0:3], s[6:7] offset:32 glc
	s_waitcnt vmcnt(0)
	v_cmp_eq_u64_e32 vcc, v[0:1], v[2:3]
	v_mov_b32_e32 v3, v1
	s_or_b64 s[16:17], vcc, s[16:17]
	v_mov_b32_e32 v2, v0
	s_andn2_b64 exec, exec, s[16:17]
	s_cbranch_execnz .LBB3_123
.LBB3_124:
	s_or_b64 exec, exec, s[14:15]
	v_mov_b32_e32 v3, 0
	global_load_dwordx2 v[0:1], v3, s[6:7] offset:16
	s_mov_b64 s[14:15], exec
	v_mbcnt_lo_u32_b32 v2, s14, 0
	v_mbcnt_hi_u32_b32 v2, s15, v2
	v_cmp_eq_u32_e32 vcc, 0, v2
	s_and_saveexec_b64 s[16:17], vcc
	s_cbranch_execz .LBB3_126
; %bb.125:
	s_bcnt1_i32_b64 s14, s[14:15]
	v_mov_b32_e32 v2, s14
	s_waitcnt vmcnt(0)
	global_atomic_add_x2 v[0:1], v[2:3], off offset:8
.LBB3_126:
	s_or_b64 exec, exec, s[16:17]
	s_waitcnt vmcnt(0)
	global_load_dwordx2 v[2:3], v[0:1], off offset:16
	s_waitcnt vmcnt(0)
	v_cmp_eq_u64_e32 vcc, 0, v[2:3]
	s_cbranch_vccnz .LBB3_128
; %bb.127:
	global_load_dword v0, v[0:1], off offset:24
	v_mov_b32_e32 v1, 0
	s_waitcnt vmcnt(0)
	v_readfirstlane_b32 s14, v0
	s_and_b32 m0, s14, 0xffffff
	global_store_dwordx2 v[2:3], v[0:1], off
	s_sendmsg sendmsg(MSG_INTERRUPT)
.LBB3_128:
	s_or_b64 exec, exec, s[12:13]
	s_branch .LBB3_132
.LBB3_129:                              ;   in Loop: Header=BB3_132 Depth=1
	s_or_b64 exec, exec, s[12:13]
	v_readfirstlane_b32 s12, v0
	s_cmp_eq_u32 s12, 0
	s_cbranch_scc1 .LBB3_131
; %bb.130:                              ;   in Loop: Header=BB3_132 Depth=1
	s_sleep 1
	s_cbranch_execnz .LBB3_132
	s_branch .LBB3_134
.LBB3_131:
	s_branch .LBB3_134
.LBB3_132:                              ; =>This Inner Loop Header: Depth=1
	v_mov_b32_e32 v0, 1
	s_and_saveexec_b64 s[12:13], s[4:5]
	s_cbranch_execz .LBB3_129
; %bb.133:                              ;   in Loop: Header=BB3_132 Depth=1
	global_load_dword v0, v[8:9], off offset:20 glc
	s_waitcnt vmcnt(0)
	buffer_wbinvl1_vol
	v_and_b32_e32 v0, 1, v0
	s_branch .LBB3_129
.LBB3_134:
	global_load_dwordx2 v[0:1], v[10:11], off
	s_and_saveexec_b64 s[12:13], s[4:5]
	s_cbranch_execz .LBB3_137
; %bb.135:
	v_mov_b32_e32 v8, 0
	global_load_dwordx2 v[2:3], v8, s[6:7] offset:40
	global_load_dwordx2 v[11:12], v8, s[6:7] offset:24 glc
	global_load_dwordx2 v[4:5], v8, s[6:7]
	s_waitcnt vmcnt(2)
	v_readfirstlane_b32 s14, v2
	v_readfirstlane_b32 s15, v3
	s_add_u32 s16, s14, 1
	s_addc_u32 s17, s15, 0
	s_add_u32 s4, s16, s10
	s_addc_u32 s5, s17, s11
	s_cmp_eq_u64 s[4:5], 0
	s_cselect_b32 s5, s17, s5
	s_cselect_b32 s4, s16, s4
	s_and_b64 s[10:11], s[4:5], s[14:15]
	s_mul_i32 s11, s11, 24
	s_mul_hi_u32 s14, s10, 24
	s_mul_i32 s10, s10, 24
	s_add_i32 s11, s14, s11
	v_mov_b32_e32 v2, s11
	s_waitcnt vmcnt(0)
	v_add_co_u32_e32 v6, vcc, s10, v4
	v_addc_co_u32_e32 v7, vcc, v5, v2, vcc
	v_mov_b32_e32 v9, s4
	global_store_dwordx2 v[6:7], v[11:12], off
	v_mov_b32_e32 v10, s5
	s_waitcnt vmcnt(0)
	global_atomic_cmpswap_x2 v[4:5], v8, v[9:12], s[6:7] offset:24 glc
	s_mov_b64 s[10:11], 0
	s_waitcnt vmcnt(0)
	v_cmp_ne_u64_e32 vcc, v[4:5], v[11:12]
	s_and_b64 exec, exec, vcc
	s_cbranch_execz .LBB3_137
.LBB3_136:                              ; =>This Inner Loop Header: Depth=1
	s_sleep 1
	global_store_dwordx2 v[6:7], v[4:5], off
	v_mov_b32_e32 v2, s4
	v_mov_b32_e32 v3, s5
	s_waitcnt vmcnt(0)
	global_atomic_cmpswap_x2 v[2:3], v8, v[2:5], s[6:7] offset:24 glc
	s_waitcnt vmcnt(0)
	v_cmp_eq_u64_e32 vcc, v[2:3], v[4:5]
	v_mov_b32_e32 v5, v3
	s_or_b64 s[10:11], vcc, s[10:11]
	v_mov_b32_e32 v4, v2
	s_andn2_b64 exec, exec, s[10:11]
	s_cbranch_execnz .LBB3_136
.LBB3_137:
	s_or_b64 exec, exec, s[12:13]
.LBB3_138:
	s_getpc_b64 s[10:11]
	s_add_u32 s10, s10, .str@rel32@lo+4
	s_addc_u32 s11, s11, .str@rel32@hi+12
	s_cmp_lg_u64 s[10:11], 0
	s_cbranch_scc0 .LBB3_223
; %bb.139:
	s_waitcnt vmcnt(0)
	v_and_b32_e32 v31, 2, v0
	v_mov_b32_e32 v26, 0
	v_and_b32_e32 v2, -3, v0
	v_mov_b32_e32 v3, v1
	s_mov_b64 s[12:13], 0x53
	v_mov_b32_e32 v8, 2
	v_mov_b32_e32 v9, 1
	s_branch .LBB3_141
.LBB3_140:                              ;   in Loop: Header=BB3_141 Depth=1
	s_or_b64 exec, exec, s[18:19]
	s_sub_u32 s12, s12, s14
	s_subb_u32 s13, s13, s15
	s_add_u32 s10, s10, s14
	s_addc_u32 s11, s11, s15
	s_cmp_lg_u64 s[12:13], 0
	s_cbranch_scc0 .LBB3_224
.LBB3_141:                              ; =>This Loop Header: Depth=1
                                        ;     Child Loop BB3_144 Depth 2
                                        ;     Child Loop BB3_152 Depth 2
	;; [unrolled: 1-line block ×11, first 2 shown]
	v_cmp_lt_u64_e64 s[4:5], s[12:13], 56
	v_cmp_gt_u64_e64 s[16:17], s[12:13], 7
	s_and_b64 s[4:5], s[4:5], exec
	s_cselect_b32 s15, s13, 0
	s_cselect_b32 s14, s12, 56
	s_add_u32 s4, s10, 8
	s_addc_u32 s5, s11, 0
	s_and_b64 vcc, exec, s[16:17]
	s_cbranch_vccnz .LBB3_145
; %bb.142:                              ;   in Loop: Header=BB3_141 Depth=1
	s_cmp_eq_u64 s[12:13], 0
	s_cbranch_scc1 .LBB3_146
; %bb.143:                              ;   in Loop: Header=BB3_141 Depth=1
	v_mov_b32_e32 v4, 0
	s_lshl_b64 s[4:5], s[14:15], 3
	s_mov_b64 s[16:17], 0
	v_mov_b32_e32 v5, 0
	s_mov_b64 s[18:19], s[10:11]
.LBB3_144:                              ;   Parent Loop BB3_141 Depth=1
                                        ; =>  This Inner Loop Header: Depth=2
	global_load_ubyte v6, v26, s[18:19]
	s_waitcnt vmcnt(0)
	v_and_b32_e32 v25, 0xffff, v6
	v_lshlrev_b64 v[6:7], s16, v[25:26]
	s_add_u32 s16, s16, 8
	s_addc_u32 s17, s17, 0
	s_add_u32 s18, s18, 1
	s_addc_u32 s19, s19, 0
	v_or_b32_e32 v4, v6, v4
	s_cmp_lg_u32 s4, s16
	v_or_b32_e32 v5, v7, v5
	s_cbranch_scc1 .LBB3_144
	s_branch .LBB3_147
.LBB3_145:                              ;   in Loop: Header=BB3_141 Depth=1
	s_mov_b32 s20, 0
	s_branch .LBB3_148
.LBB3_146:                              ;   in Loop: Header=BB3_141 Depth=1
	v_mov_b32_e32 v4, 0
	v_mov_b32_e32 v5, 0
.LBB3_147:                              ;   in Loop: Header=BB3_141 Depth=1
	s_mov_b64 s[4:5], s[10:11]
	s_mov_b32 s20, 0
	s_cbranch_execnz .LBB3_149
.LBB3_148:                              ;   in Loop: Header=BB3_141 Depth=1
	global_load_dwordx2 v[4:5], v26, s[10:11]
	s_add_i32 s20, s14, -8
.LBB3_149:                              ;   in Loop: Header=BB3_141 Depth=1
	s_add_u32 s16, s4, 8
	s_addc_u32 s17, s5, 0
	s_cmp_gt_u32 s20, 7
	s_cbranch_scc1 .LBB3_153
; %bb.150:                              ;   in Loop: Header=BB3_141 Depth=1
	s_cmp_eq_u32 s20, 0
	s_cbranch_scc1 .LBB3_154
; %bb.151:                              ;   in Loop: Header=BB3_141 Depth=1
	v_mov_b32_e32 v10, 0
	s_mov_b64 s[16:17], 0
	v_mov_b32_e32 v11, 0
	s_mov_b64 s[18:19], 0
.LBB3_152:                              ;   Parent Loop BB3_141 Depth=1
                                        ; =>  This Inner Loop Header: Depth=2
	s_add_u32 s22, s4, s18
	s_addc_u32 s23, s5, s19
	global_load_ubyte v6, v26, s[22:23]
	s_add_u32 s18, s18, 1
	s_addc_u32 s19, s19, 0
	s_waitcnt vmcnt(0)
	v_and_b32_e32 v25, 0xffff, v6
	v_lshlrev_b64 v[6:7], s16, v[25:26]
	s_add_u32 s16, s16, 8
	s_addc_u32 s17, s17, 0
	v_or_b32_e32 v10, v6, v10
	s_cmp_lg_u32 s20, s18
	v_or_b32_e32 v11, v7, v11
	s_cbranch_scc1 .LBB3_152
	s_branch .LBB3_155
.LBB3_153:                              ;   in Loop: Header=BB3_141 Depth=1
                                        ; implicit-def: $vgpr10_vgpr11
	s_mov_b32 s21, 0
	s_branch .LBB3_156
.LBB3_154:                              ;   in Loop: Header=BB3_141 Depth=1
	v_mov_b32_e32 v10, 0
	v_mov_b32_e32 v11, 0
.LBB3_155:                              ;   in Loop: Header=BB3_141 Depth=1
	s_mov_b64 s[16:17], s[4:5]
	s_mov_b32 s21, 0
	s_cbranch_execnz .LBB3_157
.LBB3_156:                              ;   in Loop: Header=BB3_141 Depth=1
	global_load_dwordx2 v[10:11], v26, s[4:5]
	s_add_i32 s21, s20, -8
.LBB3_157:                              ;   in Loop: Header=BB3_141 Depth=1
	s_add_u32 s4, s16, 8
	s_addc_u32 s5, s17, 0
	s_cmp_gt_u32 s21, 7
	s_cbranch_scc1 .LBB3_161
; %bb.158:                              ;   in Loop: Header=BB3_141 Depth=1
	s_cmp_eq_u32 s21, 0
	s_cbranch_scc1 .LBB3_162
; %bb.159:                              ;   in Loop: Header=BB3_141 Depth=1
	v_mov_b32_e32 v12, 0
	s_mov_b64 s[4:5], 0
	v_mov_b32_e32 v13, 0
	s_mov_b64 s[18:19], 0
.LBB3_160:                              ;   Parent Loop BB3_141 Depth=1
                                        ; =>  This Inner Loop Header: Depth=2
	s_add_u32 s22, s16, s18
	s_addc_u32 s23, s17, s19
	global_load_ubyte v6, v26, s[22:23]
	s_add_u32 s18, s18, 1
	s_addc_u32 s19, s19, 0
	s_waitcnt vmcnt(0)
	v_and_b32_e32 v25, 0xffff, v6
	v_lshlrev_b64 v[6:7], s4, v[25:26]
	s_add_u32 s4, s4, 8
	s_addc_u32 s5, s5, 0
	v_or_b32_e32 v12, v6, v12
	s_cmp_lg_u32 s21, s18
	v_or_b32_e32 v13, v7, v13
	s_cbranch_scc1 .LBB3_160
	s_branch .LBB3_163
.LBB3_161:                              ;   in Loop: Header=BB3_141 Depth=1
	s_mov_b32 s20, 0
	s_branch .LBB3_164
.LBB3_162:                              ;   in Loop: Header=BB3_141 Depth=1
	v_mov_b32_e32 v12, 0
	v_mov_b32_e32 v13, 0
.LBB3_163:                              ;   in Loop: Header=BB3_141 Depth=1
	s_mov_b64 s[4:5], s[16:17]
	s_mov_b32 s20, 0
	s_cbranch_execnz .LBB3_165
.LBB3_164:                              ;   in Loop: Header=BB3_141 Depth=1
	global_load_dwordx2 v[12:13], v26, s[16:17]
	s_add_i32 s20, s21, -8
.LBB3_165:                              ;   in Loop: Header=BB3_141 Depth=1
	s_add_u32 s16, s4, 8
	s_addc_u32 s17, s5, 0
	s_cmp_gt_u32 s20, 7
	s_cbranch_scc1 .LBB3_169
; %bb.166:                              ;   in Loop: Header=BB3_141 Depth=1
	s_cmp_eq_u32 s20, 0
	s_cbranch_scc1 .LBB3_170
; %bb.167:                              ;   in Loop: Header=BB3_141 Depth=1
	v_mov_b32_e32 v14, 0
	s_mov_b64 s[16:17], 0
	v_mov_b32_e32 v15, 0
	s_mov_b64 s[18:19], 0
.LBB3_168:                              ;   Parent Loop BB3_141 Depth=1
                                        ; =>  This Inner Loop Header: Depth=2
	s_add_u32 s22, s4, s18
	s_addc_u32 s23, s5, s19
	global_load_ubyte v6, v26, s[22:23]
	s_add_u32 s18, s18, 1
	s_addc_u32 s19, s19, 0
	s_waitcnt vmcnt(0)
	v_and_b32_e32 v25, 0xffff, v6
	v_lshlrev_b64 v[6:7], s16, v[25:26]
	s_add_u32 s16, s16, 8
	s_addc_u32 s17, s17, 0
	v_or_b32_e32 v14, v6, v14
	s_cmp_lg_u32 s20, s18
	v_or_b32_e32 v15, v7, v15
	s_cbranch_scc1 .LBB3_168
	s_branch .LBB3_171
.LBB3_169:                              ;   in Loop: Header=BB3_141 Depth=1
                                        ; implicit-def: $vgpr14_vgpr15
	s_mov_b32 s21, 0
	s_branch .LBB3_172
.LBB3_170:                              ;   in Loop: Header=BB3_141 Depth=1
	v_mov_b32_e32 v14, 0
	v_mov_b32_e32 v15, 0
.LBB3_171:                              ;   in Loop: Header=BB3_141 Depth=1
	s_mov_b64 s[16:17], s[4:5]
	s_mov_b32 s21, 0
	s_cbranch_execnz .LBB3_173
.LBB3_172:                              ;   in Loop: Header=BB3_141 Depth=1
	global_load_dwordx2 v[14:15], v26, s[4:5]
	s_add_i32 s21, s20, -8
.LBB3_173:                              ;   in Loop: Header=BB3_141 Depth=1
	s_add_u32 s4, s16, 8
	s_addc_u32 s5, s17, 0
	s_cmp_gt_u32 s21, 7
	s_cbranch_scc1 .LBB3_177
; %bb.174:                              ;   in Loop: Header=BB3_141 Depth=1
	s_cmp_eq_u32 s21, 0
	s_cbranch_scc1 .LBB3_178
; %bb.175:                              ;   in Loop: Header=BB3_141 Depth=1
	v_mov_b32_e32 v16, 0
	s_mov_b64 s[4:5], 0
	v_mov_b32_e32 v17, 0
	s_mov_b64 s[18:19], 0
.LBB3_176:                              ;   Parent Loop BB3_141 Depth=1
                                        ; =>  This Inner Loop Header: Depth=2
	s_add_u32 s22, s16, s18
	s_addc_u32 s23, s17, s19
	global_load_ubyte v6, v26, s[22:23]
	s_add_u32 s18, s18, 1
	s_addc_u32 s19, s19, 0
	s_waitcnt vmcnt(0)
	v_and_b32_e32 v25, 0xffff, v6
	v_lshlrev_b64 v[6:7], s4, v[25:26]
	s_add_u32 s4, s4, 8
	s_addc_u32 s5, s5, 0
	v_or_b32_e32 v16, v6, v16
	s_cmp_lg_u32 s21, s18
	v_or_b32_e32 v17, v7, v17
	s_cbranch_scc1 .LBB3_176
	s_branch .LBB3_179
.LBB3_177:                              ;   in Loop: Header=BB3_141 Depth=1
	s_mov_b32 s20, 0
	s_branch .LBB3_180
.LBB3_178:                              ;   in Loop: Header=BB3_141 Depth=1
	v_mov_b32_e32 v16, 0
	v_mov_b32_e32 v17, 0
.LBB3_179:                              ;   in Loop: Header=BB3_141 Depth=1
	s_mov_b64 s[4:5], s[16:17]
	s_mov_b32 s20, 0
	s_cbranch_execnz .LBB3_181
.LBB3_180:                              ;   in Loop: Header=BB3_141 Depth=1
	global_load_dwordx2 v[16:17], v26, s[16:17]
	s_add_i32 s20, s21, -8
.LBB3_181:                              ;   in Loop: Header=BB3_141 Depth=1
	s_add_u32 s16, s4, 8
	s_addc_u32 s17, s5, 0
	s_cmp_gt_u32 s20, 7
	s_cbranch_scc1 .LBB3_185
; %bb.182:                              ;   in Loop: Header=BB3_141 Depth=1
	s_cmp_eq_u32 s20, 0
	s_cbranch_scc1 .LBB3_186
; %bb.183:                              ;   in Loop: Header=BB3_141 Depth=1
	v_mov_b32_e32 v18, 0
	s_mov_b64 s[16:17], 0
	v_mov_b32_e32 v19, 0
	s_mov_b64 s[18:19], 0
.LBB3_184:                              ;   Parent Loop BB3_141 Depth=1
                                        ; =>  This Inner Loop Header: Depth=2
	s_add_u32 s22, s4, s18
	s_addc_u32 s23, s5, s19
	global_load_ubyte v6, v26, s[22:23]
	s_add_u32 s18, s18, 1
	s_addc_u32 s19, s19, 0
	s_waitcnt vmcnt(0)
	v_and_b32_e32 v25, 0xffff, v6
	v_lshlrev_b64 v[6:7], s16, v[25:26]
	s_add_u32 s16, s16, 8
	s_addc_u32 s17, s17, 0
	v_or_b32_e32 v18, v6, v18
	s_cmp_lg_u32 s20, s18
	v_or_b32_e32 v19, v7, v19
	s_cbranch_scc1 .LBB3_184
	s_branch .LBB3_187
.LBB3_185:                              ;   in Loop: Header=BB3_141 Depth=1
                                        ; implicit-def: $vgpr18_vgpr19
	s_mov_b32 s21, 0
	s_branch .LBB3_188
.LBB3_186:                              ;   in Loop: Header=BB3_141 Depth=1
	v_mov_b32_e32 v18, 0
	v_mov_b32_e32 v19, 0
.LBB3_187:                              ;   in Loop: Header=BB3_141 Depth=1
	s_mov_b64 s[16:17], s[4:5]
	s_mov_b32 s21, 0
	s_cbranch_execnz .LBB3_189
.LBB3_188:                              ;   in Loop: Header=BB3_141 Depth=1
	global_load_dwordx2 v[18:19], v26, s[4:5]
	s_add_i32 s21, s20, -8
.LBB3_189:                              ;   in Loop: Header=BB3_141 Depth=1
	s_cmp_gt_u32 s21, 7
	s_cbranch_scc1 .LBB3_193
; %bb.190:                              ;   in Loop: Header=BB3_141 Depth=1
	s_cmp_eq_u32 s21, 0
	s_cbranch_scc1 .LBB3_194
; %bb.191:                              ;   in Loop: Header=BB3_141 Depth=1
	v_mov_b32_e32 v20, 0
	s_mov_b64 s[4:5], 0
	v_mov_b32_e32 v21, 0
	s_mov_b64 s[18:19], s[16:17]
.LBB3_192:                              ;   Parent Loop BB3_141 Depth=1
                                        ; =>  This Inner Loop Header: Depth=2
	global_load_ubyte v6, v26, s[18:19]
	s_add_i32 s21, s21, -1
	s_waitcnt vmcnt(0)
	v_and_b32_e32 v25, 0xffff, v6
	v_lshlrev_b64 v[6:7], s4, v[25:26]
	s_add_u32 s4, s4, 8
	s_addc_u32 s5, s5, 0
	s_add_u32 s18, s18, 1
	s_addc_u32 s19, s19, 0
	v_or_b32_e32 v20, v6, v20
	s_cmp_lg_u32 s21, 0
	v_or_b32_e32 v21, v7, v21
	s_cbranch_scc1 .LBB3_192
	s_branch .LBB3_195
.LBB3_193:                              ;   in Loop: Header=BB3_141 Depth=1
	s_branch .LBB3_196
.LBB3_194:                              ;   in Loop: Header=BB3_141 Depth=1
	v_mov_b32_e32 v20, 0
	v_mov_b32_e32 v21, 0
.LBB3_195:                              ;   in Loop: Header=BB3_141 Depth=1
	s_cbranch_execnz .LBB3_197
.LBB3_196:                              ;   in Loop: Header=BB3_141 Depth=1
	global_load_dwordx2 v[20:21], v26, s[16:17]
.LBB3_197:                              ;   in Loop: Header=BB3_141 Depth=1
	v_readfirstlane_b32 s4, v30
	v_mov_b32_e32 v6, 0
	v_mov_b32_e32 v7, 0
	v_cmp_eq_u32_e64 s[4:5], s4, v30
	s_and_saveexec_b64 s[16:17], s[4:5]
	s_cbranch_execz .LBB3_203
; %bb.198:                              ;   in Loop: Header=BB3_141 Depth=1
	global_load_dwordx2 v[24:25], v26, s[6:7] offset:24 glc
	s_waitcnt vmcnt(0)
	buffer_wbinvl1_vol
	global_load_dwordx2 v[6:7], v26, s[6:7] offset:40
	global_load_dwordx2 v[22:23], v26, s[6:7]
	s_waitcnt vmcnt(1)
	v_and_b32_e32 v6, v6, v24
	v_and_b32_e32 v7, v7, v25
	v_mul_lo_u32 v7, v7, 24
	v_mul_hi_u32 v27, v6, 24
	v_mul_lo_u32 v6, v6, 24
	v_add_u32_e32 v7, v27, v7
	s_waitcnt vmcnt(0)
	v_add_co_u32_e32 v6, vcc, v22, v6
	v_addc_co_u32_e32 v7, vcc, v23, v7, vcc
	global_load_dwordx2 v[22:23], v[6:7], off glc
	s_waitcnt vmcnt(0)
	global_atomic_cmpswap_x2 v[6:7], v26, v[22:25], s[6:7] offset:24 glc
	s_waitcnt vmcnt(0)
	buffer_wbinvl1_vol
	v_cmp_ne_u64_e32 vcc, v[6:7], v[24:25]
	s_and_saveexec_b64 s[18:19], vcc
	s_cbranch_execz .LBB3_202
; %bb.199:                              ;   in Loop: Header=BB3_141 Depth=1
	s_mov_b64 s[20:21], 0
.LBB3_200:                              ;   Parent Loop BB3_141 Depth=1
                                        ; =>  This Inner Loop Header: Depth=2
	s_sleep 1
	global_load_dwordx2 v[22:23], v26, s[6:7] offset:40
	global_load_dwordx2 v[27:28], v26, s[6:7]
	v_mov_b32_e32 v25, v7
	v_mov_b32_e32 v24, v6
	s_waitcnt vmcnt(1)
	v_and_b32_e32 v6, v22, v24
	s_waitcnt vmcnt(0)
	v_mad_u64_u32 v[6:7], s[22:23], v6, 24, v[27:28]
	v_and_b32_e32 v22, v23, v25
	v_mad_u64_u32 v[22:23], s[22:23], v22, 24, v[7:8]
	v_mov_b32_e32 v7, v22
	global_load_dwordx2 v[22:23], v[6:7], off glc
	s_waitcnt vmcnt(0)
	global_atomic_cmpswap_x2 v[6:7], v26, v[22:25], s[6:7] offset:24 glc
	s_waitcnt vmcnt(0)
	buffer_wbinvl1_vol
	v_cmp_eq_u64_e32 vcc, v[6:7], v[24:25]
	s_or_b64 s[20:21], vcc, s[20:21]
	s_andn2_b64 exec, exec, s[20:21]
	s_cbranch_execnz .LBB3_200
; %bb.201:                              ;   in Loop: Header=BB3_141 Depth=1
	s_or_b64 exec, exec, s[20:21]
.LBB3_202:                              ;   in Loop: Header=BB3_141 Depth=1
	s_or_b64 exec, exec, s[18:19]
.LBB3_203:                              ;   in Loop: Header=BB3_141 Depth=1
	s_or_b64 exec, exec, s[16:17]
	global_load_dwordx2 v[27:28], v26, s[6:7] offset:40
	global_load_dwordx4 v[22:25], v26, s[6:7]
	v_readfirstlane_b32 s17, v7
	v_readfirstlane_b32 s16, v6
	s_mov_b64 s[18:19], exec
	s_waitcnt vmcnt(1)
	v_readfirstlane_b32 s20, v27
	v_readfirstlane_b32 s21, v28
	s_and_b64 s[20:21], s[20:21], s[16:17]
	s_mul_i32 s22, s21, 24
	s_mul_hi_u32 s23, s20, 24
	s_mul_i32 s24, s20, 24
	s_add_i32 s22, s23, s22
	v_mov_b32_e32 v6, s22
	s_waitcnt vmcnt(0)
	v_add_co_u32_e32 v27, vcc, s24, v22
	v_addc_co_u32_e32 v28, vcc, v23, v6, vcc
	s_and_saveexec_b64 s[22:23], s[4:5]
	s_cbranch_execz .LBB3_205
; %bb.204:                              ;   in Loop: Header=BB3_141 Depth=1
	v_mov_b32_e32 v6, s18
	v_mov_b32_e32 v7, s19
	global_store_dwordx4 v[27:28], v[6:9], off offset:8
.LBB3_205:                              ;   in Loop: Header=BB3_141 Depth=1
	s_or_b64 exec, exec, s[22:23]
	s_lshl_b64 s[18:19], s[20:21], 12
	v_mov_b32_e32 v6, s19
	v_add_co_u32_e32 v24, vcc, s18, v24
	v_addc_co_u32_e32 v32, vcc, v25, v6, vcc
	v_cmp_lt_u64_e64 vcc, s[12:13], 57
	s_lshl_b32 s18, s14, 2
	v_cndmask_b32_e32 v6, 0, v31, vcc
	s_add_i32 s18, s18, 28
	v_and_b32_e32 v2, 0xffffff1f, v2
	s_and_b32 s18, s18, 0x1e0
	v_or_b32_e32 v2, v2, v6
	v_or_b32_e32 v2, s18, v2
	v_readfirstlane_b32 s18, v24
	v_readfirstlane_b32 s19, v32
	s_nop 4
	global_store_dwordx4 v29, v[2:5], s[18:19]
	global_store_dwordx4 v29, v[10:13], s[18:19] offset:16
	global_store_dwordx4 v29, v[14:17], s[18:19] offset:32
	;; [unrolled: 1-line block ×3, first 2 shown]
	s_and_saveexec_b64 s[18:19], s[4:5]
	s_cbranch_execz .LBB3_213
; %bb.206:                              ;   in Loop: Header=BB3_141 Depth=1
	global_load_dwordx2 v[12:13], v26, s[6:7] offset:32 glc
	global_load_dwordx2 v[2:3], v26, s[6:7] offset:40
	v_mov_b32_e32 v10, s16
	v_mov_b32_e32 v11, s17
	s_waitcnt vmcnt(0)
	v_readfirstlane_b32 s20, v2
	v_readfirstlane_b32 s21, v3
	s_and_b64 s[20:21], s[20:21], s[16:17]
	s_mul_i32 s21, s21, 24
	s_mul_hi_u32 s22, s20, 24
	s_mul_i32 s20, s20, 24
	s_add_i32 s21, s22, s21
	v_mov_b32_e32 v2, s21
	v_add_co_u32_e32 v6, vcc, s20, v22
	v_addc_co_u32_e32 v7, vcc, v23, v2, vcc
	global_store_dwordx2 v[6:7], v[12:13], off
	s_waitcnt vmcnt(0)
	global_atomic_cmpswap_x2 v[4:5], v26, v[10:13], s[6:7] offset:32 glc
	s_waitcnt vmcnt(0)
	v_cmp_ne_u64_e32 vcc, v[4:5], v[12:13]
	s_and_saveexec_b64 s[20:21], vcc
	s_cbranch_execz .LBB3_209
; %bb.207:                              ;   in Loop: Header=BB3_141 Depth=1
	s_mov_b64 s[22:23], 0
.LBB3_208:                              ;   Parent Loop BB3_141 Depth=1
                                        ; =>  This Inner Loop Header: Depth=2
	s_sleep 1
	global_store_dwordx2 v[6:7], v[4:5], off
	v_mov_b32_e32 v2, s16
	v_mov_b32_e32 v3, s17
	s_waitcnt vmcnt(0)
	global_atomic_cmpswap_x2 v[2:3], v26, v[2:5], s[6:7] offset:32 glc
	s_waitcnt vmcnt(0)
	v_cmp_eq_u64_e32 vcc, v[2:3], v[4:5]
	v_mov_b32_e32 v5, v3
	s_or_b64 s[22:23], vcc, s[22:23]
	v_mov_b32_e32 v4, v2
	s_andn2_b64 exec, exec, s[22:23]
	s_cbranch_execnz .LBB3_208
.LBB3_209:                              ;   in Loop: Header=BB3_141 Depth=1
	s_or_b64 exec, exec, s[20:21]
	global_load_dwordx2 v[2:3], v26, s[6:7] offset:16
	s_mov_b64 s[22:23], exec
	v_mbcnt_lo_u32_b32 v4, s22, 0
	v_mbcnt_hi_u32_b32 v4, s23, v4
	v_cmp_eq_u32_e32 vcc, 0, v4
	s_and_saveexec_b64 s[20:21], vcc
	s_cbranch_execz .LBB3_211
; %bb.210:                              ;   in Loop: Header=BB3_141 Depth=1
	s_bcnt1_i32_b64 s22, s[22:23]
	v_mov_b32_e32 v25, s22
	s_waitcnt vmcnt(0)
	global_atomic_add_x2 v[2:3], v[25:26], off offset:8
.LBB3_211:                              ;   in Loop: Header=BB3_141 Depth=1
	s_or_b64 exec, exec, s[20:21]
	s_waitcnt vmcnt(0)
	global_load_dwordx2 v[4:5], v[2:3], off offset:16
	s_waitcnt vmcnt(0)
	v_cmp_eq_u64_e32 vcc, 0, v[4:5]
	s_cbranch_vccnz .LBB3_213
; %bb.212:                              ;   in Loop: Header=BB3_141 Depth=1
	global_load_dword v25, v[2:3], off offset:24
	s_waitcnt vmcnt(0)
	v_readfirstlane_b32 s20, v25
	s_and_b32 m0, s20, 0xffffff
	global_store_dwordx2 v[4:5], v[25:26], off
	s_sendmsg sendmsg(MSG_INTERRUPT)
.LBB3_213:                              ;   in Loop: Header=BB3_141 Depth=1
	s_or_b64 exec, exec, s[18:19]
	v_add_co_u32_e32 v2, vcc, v24, v29
	v_addc_co_u32_e32 v3, vcc, 0, v32, vcc
	s_branch .LBB3_217
.LBB3_214:                              ;   in Loop: Header=BB3_217 Depth=2
	s_or_b64 exec, exec, s[18:19]
	v_readfirstlane_b32 s18, v4
	s_cmp_eq_u32 s18, 0
	s_cbranch_scc1 .LBB3_216
; %bb.215:                              ;   in Loop: Header=BB3_217 Depth=2
	s_sleep 1
	s_cbranch_execnz .LBB3_217
	s_branch .LBB3_219
.LBB3_216:                              ;   in Loop: Header=BB3_141 Depth=1
	s_branch .LBB3_219
.LBB3_217:                              ;   Parent Loop BB3_141 Depth=1
                                        ; =>  This Inner Loop Header: Depth=2
	v_mov_b32_e32 v4, 1
	s_and_saveexec_b64 s[18:19], s[4:5]
	s_cbranch_execz .LBB3_214
; %bb.218:                              ;   in Loop: Header=BB3_217 Depth=2
	global_load_dword v4, v[27:28], off offset:20 glc
	s_waitcnt vmcnt(0)
	buffer_wbinvl1_vol
	v_and_b32_e32 v4, 1, v4
	s_branch .LBB3_214
.LBB3_219:                              ;   in Loop: Header=BB3_141 Depth=1
	global_load_dwordx2 v[2:3], v[2:3], off
	s_and_saveexec_b64 s[18:19], s[4:5]
	s_cbranch_execz .LBB3_140
; %bb.220:                              ;   in Loop: Header=BB3_141 Depth=1
	global_load_dwordx2 v[4:5], v26, s[6:7] offset:40
	global_load_dwordx2 v[14:15], v26, s[6:7] offset:24 glc
	global_load_dwordx2 v[6:7], v26, s[6:7]
	s_waitcnt vmcnt(2)
	v_readfirstlane_b32 s20, v4
	v_readfirstlane_b32 s21, v5
	s_add_u32 s22, s20, 1
	s_addc_u32 s23, s21, 0
	s_add_u32 s4, s22, s16
	s_addc_u32 s5, s23, s17
	s_cmp_eq_u64 s[4:5], 0
	s_cselect_b32 s5, s23, s5
	s_cselect_b32 s4, s22, s4
	s_and_b64 s[16:17], s[4:5], s[20:21]
	s_mul_i32 s17, s17, 24
	s_mul_hi_u32 s20, s16, 24
	s_mul_i32 s16, s16, 24
	s_add_i32 s17, s20, s17
	v_mov_b32_e32 v4, s17
	s_waitcnt vmcnt(0)
	v_add_co_u32_e32 v10, vcc, s16, v6
	v_addc_co_u32_e32 v11, vcc, v7, v4, vcc
	v_mov_b32_e32 v12, s4
	global_store_dwordx2 v[10:11], v[14:15], off
	v_mov_b32_e32 v13, s5
	s_waitcnt vmcnt(0)
	global_atomic_cmpswap_x2 v[6:7], v26, v[12:15], s[6:7] offset:24 glc
	s_waitcnt vmcnt(0)
	v_cmp_ne_u64_e32 vcc, v[6:7], v[14:15]
	s_and_b64 exec, exec, vcc
	s_cbranch_execz .LBB3_140
; %bb.221:                              ;   in Loop: Header=BB3_141 Depth=1
	s_mov_b64 s[16:17], 0
.LBB3_222:                              ;   Parent Loop BB3_141 Depth=1
                                        ; =>  This Inner Loop Header: Depth=2
	s_sleep 1
	global_store_dwordx2 v[10:11], v[6:7], off
	v_mov_b32_e32 v4, s4
	v_mov_b32_e32 v5, s5
	s_waitcnt vmcnt(0)
	global_atomic_cmpswap_x2 v[4:5], v26, v[4:7], s[6:7] offset:24 glc
	s_waitcnt vmcnt(0)
	v_cmp_eq_u64_e32 vcc, v[4:5], v[6:7]
	v_mov_b32_e32 v7, v5
	s_or_b64 s[16:17], vcc, s[16:17]
	v_mov_b32_e32 v6, v4
	s_andn2_b64 exec, exec, s[16:17]
	s_cbranch_execnz .LBB3_222
	s_branch .LBB3_140
.LBB3_223:
                                        ; implicit-def: $vgpr2_vgpr3
	s_cbranch_execnz .LBB3_225
	s_branch .LBB3_251
.LBB3_224:
	s_branch .LBB3_251
.LBB3_225:
	v_readfirstlane_b32 s4, v30
	v_mov_b32_e32 v8, 0
	v_mov_b32_e32 v9, 0
	v_cmp_eq_u32_e64 s[4:5], s4, v30
	s_and_saveexec_b64 s[10:11], s[4:5]
	s_cbranch_execz .LBB3_231
; %bb.226:
	s_waitcnt vmcnt(0)
	v_mov_b32_e32 v2, 0
	global_load_dwordx2 v[5:6], v2, s[6:7] offset:24 glc
	s_waitcnt vmcnt(0)
	buffer_wbinvl1_vol
	global_load_dwordx2 v[3:4], v2, s[6:7] offset:40
	global_load_dwordx2 v[7:8], v2, s[6:7]
	s_waitcnt vmcnt(1)
	v_and_b32_e32 v3, v3, v5
	v_and_b32_e32 v4, v4, v6
	v_mul_lo_u32 v4, v4, 24
	v_mul_hi_u32 v9, v3, 24
	v_mul_lo_u32 v3, v3, 24
	v_add_u32_e32 v4, v9, v4
	s_waitcnt vmcnt(0)
	v_add_co_u32_e32 v3, vcc, v7, v3
	v_addc_co_u32_e32 v4, vcc, v8, v4, vcc
	global_load_dwordx2 v[3:4], v[3:4], off glc
	s_waitcnt vmcnt(0)
	global_atomic_cmpswap_x2 v[8:9], v2, v[3:6], s[6:7] offset:24 glc
	s_waitcnt vmcnt(0)
	buffer_wbinvl1_vol
	v_cmp_ne_u64_e32 vcc, v[8:9], v[5:6]
	s_and_saveexec_b64 s[12:13], vcc
	s_cbranch_execz .LBB3_230
; %bb.227:
	s_mov_b64 s[14:15], 0
.LBB3_228:                              ; =>This Inner Loop Header: Depth=1
	s_sleep 1
	global_load_dwordx2 v[3:4], v2, s[6:7] offset:40
	global_load_dwordx2 v[10:11], v2, s[6:7]
	v_mov_b32_e32 v5, v8
	v_mov_b32_e32 v6, v9
	s_waitcnt vmcnt(1)
	v_and_b32_e32 v3, v3, v5
	s_waitcnt vmcnt(0)
	v_mad_u64_u32 v[7:8], s[16:17], v3, 24, v[10:11]
	v_and_b32_e32 v4, v4, v6
	v_mov_b32_e32 v3, v8
	v_mad_u64_u32 v[3:4], s[16:17], v4, 24, v[3:4]
	v_mov_b32_e32 v8, v3
	global_load_dwordx2 v[3:4], v[7:8], off glc
	s_waitcnt vmcnt(0)
	global_atomic_cmpswap_x2 v[8:9], v2, v[3:6], s[6:7] offset:24 glc
	s_waitcnt vmcnt(0)
	buffer_wbinvl1_vol
	v_cmp_eq_u64_e32 vcc, v[8:9], v[5:6]
	s_or_b64 s[14:15], vcc, s[14:15]
	s_andn2_b64 exec, exec, s[14:15]
	s_cbranch_execnz .LBB3_228
; %bb.229:
	s_or_b64 exec, exec, s[14:15]
.LBB3_230:
	s_or_b64 exec, exec, s[12:13]
.LBB3_231:
	s_or_b64 exec, exec, s[10:11]
	s_waitcnt vmcnt(0)
	v_mov_b32_e32 v2, 0
	global_load_dwordx2 v[10:11], v2, s[6:7] offset:40
	global_load_dwordx4 v[4:7], v2, s[6:7]
	v_readfirstlane_b32 s11, v9
	v_readfirstlane_b32 s10, v8
	s_mov_b64 s[12:13], exec
	s_waitcnt vmcnt(1)
	v_readfirstlane_b32 s14, v10
	v_readfirstlane_b32 s15, v11
	s_and_b64 s[14:15], s[14:15], s[10:11]
	s_mul_i32 s16, s15, 24
	s_mul_hi_u32 s17, s14, 24
	s_mul_i32 s18, s14, 24
	s_add_i32 s16, s17, s16
	v_mov_b32_e32 v3, s16
	s_waitcnt vmcnt(0)
	v_add_co_u32_e32 v8, vcc, s18, v4
	v_addc_co_u32_e32 v9, vcc, v5, v3, vcc
	s_and_saveexec_b64 s[16:17], s[4:5]
	s_cbranch_execz .LBB3_233
; %bb.232:
	v_mov_b32_e32 v10, s12
	v_mov_b32_e32 v11, s13
	;; [unrolled: 1-line block ×4, first 2 shown]
	global_store_dwordx4 v[8:9], v[10:13], off offset:8
.LBB3_233:
	s_or_b64 exec, exec, s[16:17]
	s_lshl_b64 s[12:13], s[14:15], 12
	v_mov_b32_e32 v3, s13
	v_add_co_u32_e32 v10, vcc, s12, v6
	v_addc_co_u32_e32 v11, vcc, v7, v3, vcc
	s_movk_i32 s12, 0xff1f
	v_and_or_b32 v0, v0, s12, 32
	s_mov_b32 s12, 0
	v_mov_b32_e32 v3, v2
	v_readfirstlane_b32 s16, v10
	v_readfirstlane_b32 s17, v11
	v_add_co_u32_e32 v6, vcc, v10, v29
	s_mov_b32 s13, s12
	s_mov_b32 s14, s12
	;; [unrolled: 1-line block ×3, first 2 shown]
	s_nop 0
	global_store_dwordx4 v29, v[0:3], s[16:17]
	v_addc_co_u32_e32 v7, vcc, 0, v11, vcc
	v_mov_b32_e32 v0, s12
	v_mov_b32_e32 v1, s13
	;; [unrolled: 1-line block ×4, first 2 shown]
	global_store_dwordx4 v29, v[0:3], s[16:17] offset:16
	global_store_dwordx4 v29, v[0:3], s[16:17] offset:32
	;; [unrolled: 1-line block ×3, first 2 shown]
	s_and_saveexec_b64 s[12:13], s[4:5]
	s_cbranch_execz .LBB3_241
; %bb.234:
	v_mov_b32_e32 v10, 0
	global_load_dwordx2 v[13:14], v10, s[6:7] offset:32 glc
	global_load_dwordx2 v[0:1], v10, s[6:7] offset:40
	v_mov_b32_e32 v11, s10
	v_mov_b32_e32 v12, s11
	s_waitcnt vmcnt(0)
	v_readfirstlane_b32 s14, v0
	v_readfirstlane_b32 s15, v1
	s_and_b64 s[14:15], s[14:15], s[10:11]
	s_mul_i32 s15, s15, 24
	s_mul_hi_u32 s16, s14, 24
	s_mul_i32 s14, s14, 24
	s_add_i32 s15, s16, s15
	v_mov_b32_e32 v0, s15
	v_add_co_u32_e32 v4, vcc, s14, v4
	v_addc_co_u32_e32 v5, vcc, v5, v0, vcc
	global_store_dwordx2 v[4:5], v[13:14], off
	s_waitcnt vmcnt(0)
	global_atomic_cmpswap_x2 v[2:3], v10, v[11:14], s[6:7] offset:32 glc
	s_waitcnt vmcnt(0)
	v_cmp_ne_u64_e32 vcc, v[2:3], v[13:14]
	s_and_saveexec_b64 s[14:15], vcc
	s_cbranch_execz .LBB3_237
; %bb.235:
	s_mov_b64 s[16:17], 0
.LBB3_236:                              ; =>This Inner Loop Header: Depth=1
	s_sleep 1
	global_store_dwordx2 v[4:5], v[2:3], off
	v_mov_b32_e32 v0, s10
	v_mov_b32_e32 v1, s11
	s_waitcnt vmcnt(0)
	global_atomic_cmpswap_x2 v[0:1], v10, v[0:3], s[6:7] offset:32 glc
	s_waitcnt vmcnt(0)
	v_cmp_eq_u64_e32 vcc, v[0:1], v[2:3]
	v_mov_b32_e32 v3, v1
	s_or_b64 s[16:17], vcc, s[16:17]
	v_mov_b32_e32 v2, v0
	s_andn2_b64 exec, exec, s[16:17]
	s_cbranch_execnz .LBB3_236
.LBB3_237:
	s_or_b64 exec, exec, s[14:15]
	v_mov_b32_e32 v3, 0
	global_load_dwordx2 v[0:1], v3, s[6:7] offset:16
	s_mov_b64 s[14:15], exec
	v_mbcnt_lo_u32_b32 v2, s14, 0
	v_mbcnt_hi_u32_b32 v2, s15, v2
	v_cmp_eq_u32_e32 vcc, 0, v2
	s_and_saveexec_b64 s[16:17], vcc
	s_cbranch_execz .LBB3_239
; %bb.238:
	s_bcnt1_i32_b64 s14, s[14:15]
	v_mov_b32_e32 v2, s14
	s_waitcnt vmcnt(0)
	global_atomic_add_x2 v[0:1], v[2:3], off offset:8
.LBB3_239:
	s_or_b64 exec, exec, s[16:17]
	s_waitcnt vmcnt(0)
	global_load_dwordx2 v[2:3], v[0:1], off offset:16
	s_waitcnt vmcnt(0)
	v_cmp_eq_u64_e32 vcc, 0, v[2:3]
	s_cbranch_vccnz .LBB3_241
; %bb.240:
	global_load_dword v0, v[0:1], off offset:24
	v_mov_b32_e32 v1, 0
	s_waitcnt vmcnt(0)
	v_readfirstlane_b32 s14, v0
	s_and_b32 m0, s14, 0xffffff
	global_store_dwordx2 v[2:3], v[0:1], off
	s_sendmsg sendmsg(MSG_INTERRUPT)
.LBB3_241:
	s_or_b64 exec, exec, s[12:13]
	s_branch .LBB3_245
.LBB3_242:                              ;   in Loop: Header=BB3_245 Depth=1
	s_or_b64 exec, exec, s[12:13]
	v_readfirstlane_b32 s12, v0
	s_cmp_eq_u32 s12, 0
	s_cbranch_scc1 .LBB3_244
; %bb.243:                              ;   in Loop: Header=BB3_245 Depth=1
	s_sleep 1
	s_cbranch_execnz .LBB3_245
	s_branch .LBB3_247
.LBB3_244:
	s_branch .LBB3_247
.LBB3_245:                              ; =>This Inner Loop Header: Depth=1
	v_mov_b32_e32 v0, 1
	s_and_saveexec_b64 s[12:13], s[4:5]
	s_cbranch_execz .LBB3_242
; %bb.246:                              ;   in Loop: Header=BB3_245 Depth=1
	global_load_dword v0, v[8:9], off offset:20 glc
	s_waitcnt vmcnt(0)
	buffer_wbinvl1_vol
	v_and_b32_e32 v0, 1, v0
	s_branch .LBB3_242
.LBB3_247:
	global_load_dwordx2 v[2:3], v[6:7], off
	s_and_saveexec_b64 s[12:13], s[4:5]
	s_cbranch_execz .LBB3_250
; %bb.248:
	v_mov_b32_e32 v8, 0
	global_load_dwordx2 v[0:1], v8, s[6:7] offset:40
	global_load_dwordx2 v[11:12], v8, s[6:7] offset:24 glc
	global_load_dwordx2 v[4:5], v8, s[6:7]
	s_waitcnt vmcnt(2)
	v_readfirstlane_b32 s14, v0
	v_readfirstlane_b32 s15, v1
	s_add_u32 s16, s14, 1
	s_addc_u32 s17, s15, 0
	s_add_u32 s4, s16, s10
	s_addc_u32 s5, s17, s11
	s_cmp_eq_u64 s[4:5], 0
	s_cselect_b32 s5, s17, s5
	s_cselect_b32 s4, s16, s4
	s_and_b64 s[10:11], s[4:5], s[14:15]
	s_mul_i32 s11, s11, 24
	s_mul_hi_u32 s14, s10, 24
	s_mul_i32 s10, s10, 24
	s_add_i32 s11, s14, s11
	v_mov_b32_e32 v1, s11
	s_waitcnt vmcnt(0)
	v_add_co_u32_e32 v0, vcc, s10, v4
	v_addc_co_u32_e32 v1, vcc, v5, v1, vcc
	v_mov_b32_e32 v9, s4
	global_store_dwordx2 v[0:1], v[11:12], off
	v_mov_b32_e32 v10, s5
	s_waitcnt vmcnt(0)
	global_atomic_cmpswap_x2 v[6:7], v8, v[9:12], s[6:7] offset:24 glc
	s_mov_b64 s[10:11], 0
	s_waitcnt vmcnt(0)
	v_cmp_ne_u64_e32 vcc, v[6:7], v[11:12]
	s_and_b64 exec, exec, vcc
	s_cbranch_execz .LBB3_250
.LBB3_249:                              ; =>This Inner Loop Header: Depth=1
	s_sleep 1
	global_store_dwordx2 v[0:1], v[6:7], off
	v_mov_b32_e32 v4, s4
	v_mov_b32_e32 v5, s5
	s_waitcnt vmcnt(0)
	global_atomic_cmpswap_x2 v[4:5], v8, v[4:7], s[6:7] offset:24 glc
	s_waitcnt vmcnt(0)
	v_cmp_eq_u64_e32 vcc, v[4:5], v[6:7]
	v_mov_b32_e32 v7, v5
	s_or_b64 s[10:11], vcc, s[10:11]
	v_mov_b32_e32 v6, v4
	s_andn2_b64 exec, exec, s[10:11]
	s_cbranch_execnz .LBB3_249
.LBB3_250:
	s_or_b64 exec, exec, s[12:13]
.LBB3_251:
	v_readfirstlane_b32 s4, v30
	s_waitcnt vmcnt(0)
	v_mov_b32_e32 v0, 0
	v_mov_b32_e32 v1, 0
	v_cmp_eq_u32_e64 s[4:5], s4, v30
	s_and_saveexec_b64 s[10:11], s[4:5]
	s_cbranch_execz .LBB3_257
; %bb.252:
	v_mov_b32_e32 v4, 0
	global_load_dwordx2 v[7:8], v4, s[6:7] offset:24 glc
	s_waitcnt vmcnt(0)
	buffer_wbinvl1_vol
	global_load_dwordx2 v[0:1], v4, s[6:7] offset:40
	global_load_dwordx2 v[5:6], v4, s[6:7]
	s_waitcnt vmcnt(1)
	v_and_b32_e32 v0, v0, v7
	v_and_b32_e32 v1, v1, v8
	v_mul_lo_u32 v1, v1, 24
	v_mul_hi_u32 v9, v0, 24
	v_mul_lo_u32 v0, v0, 24
	v_add_u32_e32 v1, v9, v1
	s_waitcnt vmcnt(0)
	v_add_co_u32_e32 v0, vcc, v5, v0
	v_addc_co_u32_e32 v1, vcc, v6, v1, vcc
	global_load_dwordx2 v[5:6], v[0:1], off glc
	s_waitcnt vmcnt(0)
	global_atomic_cmpswap_x2 v[0:1], v4, v[5:8], s[6:7] offset:24 glc
	s_waitcnt vmcnt(0)
	buffer_wbinvl1_vol
	v_cmp_ne_u64_e32 vcc, v[0:1], v[7:8]
	s_and_saveexec_b64 s[12:13], vcc
	s_cbranch_execz .LBB3_256
; %bb.253:
	s_mov_b64 s[14:15], 0
.LBB3_254:                              ; =>This Inner Loop Header: Depth=1
	s_sleep 1
	global_load_dwordx2 v[5:6], v4, s[6:7] offset:40
	global_load_dwordx2 v[9:10], v4, s[6:7]
	v_mov_b32_e32 v8, v1
	v_mov_b32_e32 v7, v0
	s_waitcnt vmcnt(1)
	v_and_b32_e32 v0, v5, v7
	s_waitcnt vmcnt(0)
	v_mad_u64_u32 v[0:1], s[16:17], v0, 24, v[9:10]
	v_and_b32_e32 v5, v6, v8
	v_mad_u64_u32 v[5:6], s[16:17], v5, 24, v[1:2]
	v_mov_b32_e32 v1, v5
	global_load_dwordx2 v[5:6], v[0:1], off glc
	s_waitcnt vmcnt(0)
	global_atomic_cmpswap_x2 v[0:1], v4, v[5:8], s[6:7] offset:24 glc
	s_waitcnt vmcnt(0)
	buffer_wbinvl1_vol
	v_cmp_eq_u64_e32 vcc, v[0:1], v[7:8]
	s_or_b64 s[14:15], vcc, s[14:15]
	s_andn2_b64 exec, exec, s[14:15]
	s_cbranch_execnz .LBB3_254
; %bb.255:
	s_or_b64 exec, exec, s[14:15]
.LBB3_256:
	s_or_b64 exec, exec, s[12:13]
.LBB3_257:
	s_or_b64 exec, exec, s[10:11]
	v_mov_b32_e32 v5, 0
	global_load_dwordx2 v[10:11], v5, s[6:7] offset:40
	global_load_dwordx4 v[6:9], v5, s[6:7]
	v_readfirstlane_b32 s11, v1
	v_readfirstlane_b32 s10, v0
	s_mov_b64 s[12:13], exec
	s_waitcnt vmcnt(1)
	v_readfirstlane_b32 s14, v10
	v_readfirstlane_b32 s15, v11
	s_and_b64 s[14:15], s[14:15], s[10:11]
	s_mul_i32 s16, s15, 24
	s_mul_hi_u32 s17, s14, 24
	s_mul_i32 s18, s14, 24
	s_add_i32 s16, s17, s16
	v_mov_b32_e32 v0, s16
	s_waitcnt vmcnt(0)
	v_add_co_u32_e32 v10, vcc, s18, v6
	v_addc_co_u32_e32 v11, vcc, v7, v0, vcc
	s_and_saveexec_b64 s[16:17], s[4:5]
	s_cbranch_execz .LBB3_259
; %bb.258:
	v_mov_b32_e32 v12, s12
	v_mov_b32_e32 v13, s13
	;; [unrolled: 1-line block ×4, first 2 shown]
	global_store_dwordx4 v[10:11], v[12:15], off offset:8
.LBB3_259:
	s_or_b64 exec, exec, s[16:17]
	s_lshl_b64 s[12:13], s[14:15], 12
	v_mov_b32_e32 v0, s13
	v_add_co_u32_e32 v1, vcc, s12, v8
	v_addc_co_u32_e32 v0, vcc, v9, v0, vcc
	s_movk_i32 s12, 0xff1f
	v_and_or_b32 v2, v2, s12, 32
	v_add_co_u32_e32 v8, vcc, v1, v29
	s_mov_b32 s12, 0
	v_mov_b32_e32 v4, 0xa8
	v_readfirstlane_b32 s16, v1
	v_readfirstlane_b32 s17, v0
	v_addc_co_u32_e32 v9, vcc, 0, v0, vcc
	s_mov_b32 s13, s12
	s_mov_b32 s14, s12
	;; [unrolled: 1-line block ×3, first 2 shown]
	s_nop 0
	global_store_dwordx4 v29, v[2:5], s[16:17]
	v_mov_b32_e32 v0, s12
	v_mov_b32_e32 v1, s13
	;; [unrolled: 1-line block ×4, first 2 shown]
	global_store_dwordx4 v29, v[0:3], s[16:17] offset:16
	global_store_dwordx4 v29, v[0:3], s[16:17] offset:32
	;; [unrolled: 1-line block ×3, first 2 shown]
	s_and_saveexec_b64 s[12:13], s[4:5]
	s_cbranch_execz .LBB3_267
; %bb.260:
	v_mov_b32_e32 v12, 0
	global_load_dwordx2 v[15:16], v12, s[6:7] offset:32 glc
	global_load_dwordx2 v[0:1], v12, s[6:7] offset:40
	v_mov_b32_e32 v13, s10
	v_mov_b32_e32 v14, s11
	s_waitcnt vmcnt(0)
	v_readfirstlane_b32 s14, v0
	v_readfirstlane_b32 s15, v1
	s_and_b64 s[14:15], s[14:15], s[10:11]
	s_mul_i32 s15, s15, 24
	s_mul_hi_u32 s16, s14, 24
	s_mul_i32 s14, s14, 24
	s_add_i32 s15, s16, s15
	v_mov_b32_e32 v0, s15
	v_add_co_u32_e32 v4, vcc, s14, v6
	v_addc_co_u32_e32 v5, vcc, v7, v0, vcc
	global_store_dwordx2 v[4:5], v[15:16], off
	s_waitcnt vmcnt(0)
	global_atomic_cmpswap_x2 v[2:3], v12, v[13:16], s[6:7] offset:32 glc
	s_waitcnt vmcnt(0)
	v_cmp_ne_u64_e32 vcc, v[2:3], v[15:16]
	s_and_saveexec_b64 s[14:15], vcc
	s_cbranch_execz .LBB3_263
; %bb.261:
	s_mov_b64 s[16:17], 0
.LBB3_262:                              ; =>This Inner Loop Header: Depth=1
	s_sleep 1
	global_store_dwordx2 v[4:5], v[2:3], off
	v_mov_b32_e32 v0, s10
	v_mov_b32_e32 v1, s11
	s_waitcnt vmcnt(0)
	global_atomic_cmpswap_x2 v[0:1], v12, v[0:3], s[6:7] offset:32 glc
	s_waitcnt vmcnt(0)
	v_cmp_eq_u64_e32 vcc, v[0:1], v[2:3]
	v_mov_b32_e32 v3, v1
	s_or_b64 s[16:17], vcc, s[16:17]
	v_mov_b32_e32 v2, v0
	s_andn2_b64 exec, exec, s[16:17]
	s_cbranch_execnz .LBB3_262
.LBB3_263:
	s_or_b64 exec, exec, s[14:15]
	v_mov_b32_e32 v3, 0
	global_load_dwordx2 v[0:1], v3, s[6:7] offset:16
	s_mov_b64 s[14:15], exec
	v_mbcnt_lo_u32_b32 v2, s14, 0
	v_mbcnt_hi_u32_b32 v2, s15, v2
	v_cmp_eq_u32_e32 vcc, 0, v2
	s_and_saveexec_b64 s[16:17], vcc
	s_cbranch_execz .LBB3_265
; %bb.264:
	s_bcnt1_i32_b64 s14, s[14:15]
	v_mov_b32_e32 v2, s14
	s_waitcnt vmcnt(0)
	global_atomic_add_x2 v[0:1], v[2:3], off offset:8
.LBB3_265:
	s_or_b64 exec, exec, s[16:17]
	s_waitcnt vmcnt(0)
	global_load_dwordx2 v[2:3], v[0:1], off offset:16
	s_waitcnt vmcnt(0)
	v_cmp_eq_u64_e32 vcc, 0, v[2:3]
	s_cbranch_vccnz .LBB3_267
; %bb.266:
	global_load_dword v0, v[0:1], off offset:24
	v_mov_b32_e32 v1, 0
	s_waitcnt vmcnt(0)
	v_readfirstlane_b32 s14, v0
	s_and_b32 m0, s14, 0xffffff
	global_store_dwordx2 v[2:3], v[0:1], off
	s_sendmsg sendmsg(MSG_INTERRUPT)
.LBB3_267:
	s_or_b64 exec, exec, s[12:13]
	s_branch .LBB3_271
.LBB3_268:                              ;   in Loop: Header=BB3_271 Depth=1
	s_or_b64 exec, exec, s[12:13]
	v_readfirstlane_b32 s12, v0
	s_cmp_eq_u32 s12, 0
	s_cbranch_scc1 .LBB3_270
; %bb.269:                              ;   in Loop: Header=BB3_271 Depth=1
	s_sleep 1
	s_cbranch_execnz .LBB3_271
	s_branch .LBB3_273
.LBB3_270:
	s_branch .LBB3_273
.LBB3_271:                              ; =>This Inner Loop Header: Depth=1
	v_mov_b32_e32 v0, 1
	s_and_saveexec_b64 s[12:13], s[4:5]
	s_cbranch_execz .LBB3_268
; %bb.272:                              ;   in Loop: Header=BB3_271 Depth=1
	global_load_dword v0, v[10:11], off offset:20 glc
	s_waitcnt vmcnt(0)
	buffer_wbinvl1_vol
	v_and_b32_e32 v0, 1, v0
	s_branch .LBB3_268
.LBB3_273:
	global_load_dwordx2 v[0:1], v[8:9], off
	s_and_saveexec_b64 s[12:13], s[4:5]
	s_cbranch_execz .LBB3_276
; %bb.274:
	v_mov_b32_e32 v8, 0
	global_load_dwordx2 v[2:3], v8, s[6:7] offset:40
	global_load_dwordx2 v[11:12], v8, s[6:7] offset:24 glc
	global_load_dwordx2 v[4:5], v8, s[6:7]
	s_waitcnt vmcnt(2)
	v_readfirstlane_b32 s14, v2
	v_readfirstlane_b32 s15, v3
	s_add_u32 s16, s14, 1
	s_addc_u32 s17, s15, 0
	s_add_u32 s4, s16, s10
	s_addc_u32 s5, s17, s11
	s_cmp_eq_u64 s[4:5], 0
	s_cselect_b32 s5, s17, s5
	s_cselect_b32 s4, s16, s4
	s_and_b64 s[10:11], s[4:5], s[14:15]
	s_mul_i32 s11, s11, 24
	s_mul_hi_u32 s14, s10, 24
	s_mul_i32 s10, s10, 24
	s_add_i32 s11, s14, s11
	v_mov_b32_e32 v2, s11
	s_waitcnt vmcnt(0)
	v_add_co_u32_e32 v6, vcc, s10, v4
	v_addc_co_u32_e32 v7, vcc, v5, v2, vcc
	v_mov_b32_e32 v9, s4
	global_store_dwordx2 v[6:7], v[11:12], off
	v_mov_b32_e32 v10, s5
	s_waitcnt vmcnt(0)
	global_atomic_cmpswap_x2 v[4:5], v8, v[9:12], s[6:7] offset:24 glc
	s_mov_b64 s[10:11], 0
	s_waitcnt vmcnt(0)
	v_cmp_ne_u64_e32 vcc, v[4:5], v[11:12]
	s_and_b64 exec, exec, vcc
	s_cbranch_execz .LBB3_276
.LBB3_275:                              ; =>This Inner Loop Header: Depth=1
	s_sleep 1
	global_store_dwordx2 v[6:7], v[4:5], off
	v_mov_b32_e32 v2, s4
	v_mov_b32_e32 v3, s5
	s_waitcnt vmcnt(0)
	global_atomic_cmpswap_x2 v[2:3], v8, v[2:5], s[6:7] offset:24 glc
	s_waitcnt vmcnt(0)
	v_cmp_eq_u64_e32 vcc, v[2:3], v[4:5]
	v_mov_b32_e32 v5, v3
	s_or_b64 s[10:11], vcc, s[10:11]
	v_mov_b32_e32 v4, v2
	s_andn2_b64 exec, exec, s[10:11]
	s_cbranch_execnz .LBB3_275
.LBB3_276:
	s_or_b64 exec, exec, s[12:13]
	s_getpc_b64 s[4:5]
	s_add_u32 s4, s4, __FUNCTION__._ZL18quantize_mmq_nvfp4PKfPKiPvlllllll@rel32@lo+4
	s_addc_u32 s5, s5, __FUNCTION__._ZL18quantize_mmq_nvfp4PKfPKiPvlllllll@rel32@hi+12
	s_cmp_lg_u64 s[4:5], 0
	s_cselect_b32 s10, 19, 0
	s_getpc_b64 s[6:7]
	s_add_u32 s6, s6, __ockl_printf_append_string_n@rel32@lo+4
	s_addc_u32 s7, s7, __ockl_printf_append_string_n@rel32@hi+12
	v_mov_b32_e32 v2, s4
	v_mov_b32_e32 v3, s5
	;; [unrolled: 1-line block ×4, first 2 shown]
	s_mov_b64 s[24:25], s[8:9]
	s_swappc_b64 s[30:31], s[6:7]
	s_getpc_b64 s[4:5]
	s_add_u32 s4, s4, __ockl_printf_append_args@rel32@lo+4
	s_addc_u32 s5, s5, __ockl_printf_append_args@rel32@hi+12
	s_mov_b64 s[8:9], s[24:25]
	v_mov_b32_e32 v2, 0x514
	v_mov_b32_e32 v3, 0
	;; [unrolled: 1-line block ×3, first 2 shown]
	s_swappc_b64 s[30:31], s[4:5]
	s_trap 2
.Lfunc_end3:
	.size	_ZL14no_device_codePKciS0_iS0_, .Lfunc_end3-_ZL14no_device_codePKciS0_iS0_
                                        ; -- End function
	.set .L_ZL14no_device_codePKciS0_iS0_.num_vgpr, max(41, .L__ockl_printf_append_string_n.num_vgpr, .L__ockl_printf_append_args.num_vgpr)
	.set .L_ZL14no_device_codePKciS0_iS0_.num_agpr, max(0, .L__ockl_printf_append_string_n.num_agpr, .L__ockl_printf_append_args.num_agpr)
	.set .L_ZL14no_device_codePKciS0_iS0_.numbered_sgpr, max(34, .L__ockl_printf_append_string_n.numbered_sgpr, .L__ockl_printf_append_args.numbered_sgpr)
	.set .L_ZL14no_device_codePKciS0_iS0_.num_named_barrier, max(0, .L__ockl_printf_append_string_n.num_named_barrier, .L__ockl_printf_append_args.num_named_barrier)
	.set .L_ZL14no_device_codePKciS0_iS0_.private_seg_size, 16+max(.L__ockl_printf_append_string_n.private_seg_size, .L__ockl_printf_append_args.private_seg_size)
	.set .L_ZL14no_device_codePKciS0_iS0_.uses_vcc, or(1, .L__ockl_printf_append_string_n.uses_vcc, .L__ockl_printf_append_args.uses_vcc)
	.set .L_ZL14no_device_codePKciS0_iS0_.uses_flat_scratch, or(0, .L__ockl_printf_append_string_n.uses_flat_scratch, .L__ockl_printf_append_args.uses_flat_scratch)
	.set .L_ZL14no_device_codePKciS0_iS0_.has_dyn_sized_stack, or(0, .L__ockl_printf_append_string_n.has_dyn_sized_stack, .L__ockl_printf_append_args.has_dyn_sized_stack)
	.set .L_ZL14no_device_codePKciS0_iS0_.has_recursion, or(0, .L__ockl_printf_append_string_n.has_recursion, .L__ockl_printf_append_args.has_recursion)
	.set .L_ZL14no_device_codePKciS0_iS0_.has_indirect_call, or(0, .L__ockl_printf_append_string_n.has_indirect_call, .L__ockl_printf_append_args.has_indirect_call)
	.section	.AMDGPU.csdata,"",@progbits
; Function info:
; codeLenInByte = 9412
; TotalNumSgprs: 38
; NumVgprs: 41
; ScratchSize: 16
; MemoryBound: 0
	.section	.text._ZL18quantize_mmq_nvfp4PKfPKiPvlllllll,"axG",@progbits,_ZL18quantize_mmq_nvfp4PKfPKiPvlllllll,comdat
	.globl	_ZL18quantize_mmq_nvfp4PKfPKiPvlllllll ; -- Begin function _ZL18quantize_mmq_nvfp4PKfPKiPvlllllll
	.p2align	8
	.type	_ZL18quantize_mmq_nvfp4PKfPKiPvlllllll,@function
_ZL18quantize_mmq_nvfp4PKfPKiPvlllllll: ; @_ZL18quantize_mmq_nvfp4PKfPKiPvlllllll
; %bb.0:
	s_add_u32 s0, s0, s7
	s_addc_u32 s1, s1, 0
	s_add_u32 s8, s4, 0x50
	s_addc_u32 s9, s5, 0
	s_getpc_b64 s[4:5]
	s_add_u32 s4, s4, _ZL14no_device_codePKciS0_iS0_@rel32@lo+4
	s_addc_u32 s5, s5, _ZL14no_device_codePKciS0_iS0_@rel32@hi+12
	s_mov_b32 s32, 0
	s_swappc_b64 s[30:31], s[4:5]
	.section	.rodata,"a",@progbits
	.p2align	6, 0x0
	.amdhsa_kernel _ZL18quantize_mmq_nvfp4PKfPKiPvlllllll
		.amdhsa_group_segment_fixed_size 0
		.amdhsa_private_segment_fixed_size 16
		.amdhsa_kernarg_size 336
		.amdhsa_user_sgpr_count 6
		.amdhsa_user_sgpr_private_segment_buffer 1
		.amdhsa_user_sgpr_dispatch_ptr 0
		.amdhsa_user_sgpr_queue_ptr 0
		.amdhsa_user_sgpr_kernarg_segment_ptr 1
		.amdhsa_user_sgpr_dispatch_id 0
		.amdhsa_user_sgpr_flat_scratch_init 0
		.amdhsa_user_sgpr_private_segment_size 0
		.amdhsa_uses_dynamic_stack 0
		.amdhsa_system_sgpr_private_segment_wavefront_offset 1
		.amdhsa_system_sgpr_workgroup_id_x 1
		.amdhsa_system_sgpr_workgroup_id_y 0
		.amdhsa_system_sgpr_workgroup_id_z 0
		.amdhsa_system_sgpr_workgroup_info 0
		.amdhsa_system_vgpr_workitem_id 0
		.amdhsa_next_free_vgpr 41
		.amdhsa_next_free_sgpr 34
		.amdhsa_reserve_vcc 1
		.amdhsa_reserve_flat_scratch 0
		.amdhsa_float_round_mode_32 0
		.amdhsa_float_round_mode_16_64 0
		.amdhsa_float_denorm_mode_32 3
		.amdhsa_float_denorm_mode_16_64 3
		.amdhsa_dx10_clamp 1
		.amdhsa_ieee_mode 1
		.amdhsa_fp16_overflow 0
		.amdhsa_exception_fp_ieee_invalid_op 0
		.amdhsa_exception_fp_denorm_src 0
		.amdhsa_exception_fp_ieee_div_zero 0
		.amdhsa_exception_fp_ieee_overflow 0
		.amdhsa_exception_fp_ieee_underflow 0
		.amdhsa_exception_fp_ieee_inexact 0
		.amdhsa_exception_int_div_zero 0
	.end_amdhsa_kernel
	.section	.text._ZL18quantize_mmq_nvfp4PKfPKiPvlllllll,"axG",@progbits,_ZL18quantize_mmq_nvfp4PKfPKiPvlllllll,comdat
.Lfunc_end4:
	.size	_ZL18quantize_mmq_nvfp4PKfPKiPvlllllll, .Lfunc_end4-_ZL18quantize_mmq_nvfp4PKfPKiPvlllllll
                                        ; -- End function
	.set _ZL18quantize_mmq_nvfp4PKfPKiPvlllllll.num_vgpr, max(0, .L_ZL14no_device_codePKciS0_iS0_.num_vgpr)
	.set _ZL18quantize_mmq_nvfp4PKfPKiPvlllllll.num_agpr, max(0, .L_ZL14no_device_codePKciS0_iS0_.num_agpr)
	.set _ZL18quantize_mmq_nvfp4PKfPKiPvlllllll.numbered_sgpr, max(33, .L_ZL14no_device_codePKciS0_iS0_.numbered_sgpr)
	.set _ZL18quantize_mmq_nvfp4PKfPKiPvlllllll.num_named_barrier, max(0, .L_ZL14no_device_codePKciS0_iS0_.num_named_barrier)
	.set _ZL18quantize_mmq_nvfp4PKfPKiPvlllllll.private_seg_size, 0+max(.L_ZL14no_device_codePKciS0_iS0_.private_seg_size)
	.set _ZL18quantize_mmq_nvfp4PKfPKiPvlllllll.uses_vcc, or(1, .L_ZL14no_device_codePKciS0_iS0_.uses_vcc)
	.set _ZL18quantize_mmq_nvfp4PKfPKiPvlllllll.uses_flat_scratch, or(0, .L_ZL14no_device_codePKciS0_iS0_.uses_flat_scratch)
	.set _ZL18quantize_mmq_nvfp4PKfPKiPvlllllll.has_dyn_sized_stack, or(0, .L_ZL14no_device_codePKciS0_iS0_.has_dyn_sized_stack)
	.set _ZL18quantize_mmq_nvfp4PKfPKiPvlllllll.has_recursion, or(0, .L_ZL14no_device_codePKciS0_iS0_.has_recursion)
	.set _ZL18quantize_mmq_nvfp4PKfPKiPvlllllll.has_indirect_call, or(0, .L_ZL14no_device_codePKciS0_iS0_.has_indirect_call)
	.section	.AMDGPU.csdata,"",@progbits
; Kernel info:
; codeLenInByte = 48
; TotalNumSgprs: 38
; NumVgprs: 41
; ScratchSize: 16
; MemoryBound: 0
; FloatMode: 240
; IeeeMode: 1
; LDSByteSize: 0 bytes/workgroup (compile time only)
; SGPRBlocks: 4
; VGPRBlocks: 10
; NumSGPRsForWavesPerEU: 38
; NumVGPRsForWavesPerEU: 41
; Occupancy: 5
; WaveLimiterHint : 1
; COMPUTE_PGM_RSRC2:SCRATCH_EN: 1
; COMPUTE_PGM_RSRC2:USER_SGPR: 6
; COMPUTE_PGM_RSRC2:TRAP_HANDLER: 0
; COMPUTE_PGM_RSRC2:TGID_X_EN: 1
; COMPUTE_PGM_RSRC2:TGID_Y_EN: 0
; COMPUTE_PGM_RSRC2:TGID_Z_EN: 0
; COMPUTE_PGM_RSRC2:TIDIG_COMP_CNT: 0
	.section	.text._ZL18quantize_mmq_mxfp4PKfPKiPvlllllii,"axG",@progbits,_ZL18quantize_mmq_mxfp4PKfPKiPvlllllii,comdat
	.globl	_ZL18quantize_mmq_mxfp4PKfPKiPvlllllii ; -- Begin function _ZL18quantize_mmq_mxfp4PKfPKiPvlllllii
	.p2align	8
	.type	_ZL18quantize_mmq_mxfp4PKfPKiPvlllllii,@function
_ZL18quantize_mmq_mxfp4PKfPKiPvlllllii: ; @_ZL18quantize_mmq_mxfp4PKfPKiPvlllllii
; %bb.0:
	s_load_dword s0, s[4:5], 0x54
	s_load_dwordx2 s[10:11], s[4:5], 0x38
	v_mov_b32_e32 v2, 0
	s_waitcnt lgkmcnt(0)
	s_lshr_b32 s0, s0, 16
	s_mul_i32 s7, s7, s0
	v_add_lshl_u32 v1, s7, v1, 6
	v_cmp_gt_i64_e32 vcc, s[10:11], v[1:2]
	s_and_saveexec_b64 s[0:1], vcc
	s_cbranch_execz .LBB5_21
; %bb.1:
	s_load_dwordx2 s[20:21], s[4:5], 0x40
	s_load_dwordx4 s[0:3], s[4:5], 0x0
	s_load_dwordx8 s[12:19], s[4:5], 0x18
	s_mov_b32 s7, 0
	s_waitcnt lgkmcnt(0)
	v_cvt_f32_u32_e32 v2, s21
	s_sub_i32 s9, 0, s21
	v_rcp_iflag_f32_e32 v2, v2
	v_mul_f32_e32 v2, 0x4f7ffffe, v2
	v_cvt_u32_f32_e32 v2, v2
	v_readfirstlane_b32 s22, v2
	s_mul_i32 s9, s9, s22
	s_mul_hi_u32 s9, s22, s9
	s_add_i32 s22, s22, s9
	s_mul_hi_u32 s9, s8, s22
	s_cmp_eq_u64 s[2:3], 0
	s_mov_b64 s[22:23], s[6:7]
	s_cbranch_scc1 .LBB5_3
; %bb.2:
	s_lshl_b64 s[22:23], s[6:7], 2
	s_add_u32 s2, s2, s22
	s_addc_u32 s3, s3, s23
	s_load_dword s22, s[2:3], 0x0
	s_waitcnt lgkmcnt(0)
	s_ashr_i32 s23, s22, 31
.LBB5_3:
	s_mul_i32 s2, s9, s21
	s_sub_i32 s2, s8, s2
	s_add_i32 s3, s9, 1
	s_sub_i32 s7, s2, s21
	s_cmp_ge_u32 s2, s21
	s_cselect_b32 s3, s3, s9
	s_cselect_b32 s2, s7, s2
	s_add_i32 s7, s3, 1
	s_cmp_ge_u32 s2, s21
	s_cselect_b32 s2, s7, s3
	s_mul_i32 s3, s2, s21
	s_sub_i32 s7, s8, s3
	s_mul_i32 s3, s19, s2
	s_mul_hi_u32 s9, s18, s2
	s_add_i32 s3, s9, s3
	s_mul_i32 s9, s17, s7
	s_mul_hi_u32 s17, s16, s7
	s_add_i32 s17, s17, s9
	s_mul_i32 s16, s16, s7
	s_mul_i32 s7, s22, s15
	s_mul_hi_u32 s9, s22, s14
	s_mul_i32 s2, s18, s2
	s_add_i32 s7, s9, s7
	s_mul_i32 s9, s23, s14
	s_add_i32 s15, s7, s9
	s_lshl_b64 s[2:3], s[2:3], 2
	s_add_u32 s2, s0, s2
	s_addc_u32 s3, s1, s3
	s_lshl_b64 s[0:1], s[16:17], 2
	s_mul_i32 s14, s22, s14
	s_add_u32 s2, s2, s0
	s_addc_u32 s3, s3, s1
	s_lshl_b64 s[0:1], s[14:15], 2
	s_add_u32 s7, s2, s0
	v_add_co_u32_e32 v2, vcc, v1, v0
	s_addc_u32 s9, s3, s1
	v_addc_co_u32_e64 v3, s[0:1], 0, 0, vcc
	v_cmp_gt_i64_e32 vcc, s[12:13], v[2:3]
	v_lshlrev_b64 v[2:3], 2, v[2:3]
	v_mov_b32_e32 v6, 0
	v_mov_b32_e32 v4, 0
	s_and_saveexec_b64 s[0:1], vcc
	s_cbranch_execz .LBB5_5
; %bb.4:
	v_mov_b32_e32 v5, s9
	v_add_co_u32_e32 v4, vcc, s7, v2
	v_addc_co_u32_e32 v5, vcc, v5, v3, vcc
	global_load_dword v4, v[4:5], off
.LBB5_5:
	s_or_b64 exec, exec, s[0:1]
	v_mbcnt_lo_u32_b32 v5, -1, 0
	v_mbcnt_hi_u32_b32 v5, -1, v5
	v_and_b32_e32 v7, 0x60, v5
	v_add_u32_e32 v7, 32, v7
	v_xor_b32_e32 v8, 16, v5
	v_cmp_lt_i32_e32 vcc, v8, v7
	v_cndmask_b32_e32 v8, v5, v8, vcc
	s_waitcnt vmcnt(0)
	v_and_b32_e32 v9, 0x7fffffff, v4
	v_lshlrev_b32_e32 v8, 2, v8
	ds_bpermute_b32 v9, v8, v9
	v_max_f32_e64 v10, |v4|, |v4|
	s_load_dwordx2 s[0:1], s[4:5], 0x10
	s_waitcnt lgkmcnt(0)
	v_max_f32_e32 v9, v9, v9
	v_max_f32_e32 v10, v10, v9
	v_xor_b32_e32 v9, 8, v5
	v_cmp_lt_i32_e32 vcc, v9, v7
	v_cndmask_b32_e32 v9, v5, v9, vcc
	v_lshlrev_b32_e32 v9, 2, v9
	ds_bpermute_b32 v11, v9, v10
	s_waitcnt lgkmcnt(0)
	v_max_f32_e32 v11, v11, v11
	v_max_f32_e32 v10, v10, v11
	v_xor_b32_e32 v11, 4, v5
	v_cmp_lt_i32_e32 vcc, v11, v7
	v_cndmask_b32_e32 v11, v5, v11, vcc
	v_lshlrev_b32_e32 v12, 2, v11
	ds_bpermute_b32 v11, v12, v10
	;; [unrolled: 8-line block ×4, first 2 shown]
	s_waitcnt lgkmcnt(0)
	v_max_f32_e32 v7, v7, v7
	v_max_f32_e32 v7, v10, v7
	v_cmp_lt_f32_e32 vcc, 0, v7
	s_and_saveexec_b64 s[2:3], vcc
	s_cbranch_execz .LBB5_7
; %bb.6:
	s_mov_b32 s4, 0x800000
	v_cmp_gt_f32_e32 vcc, s4, v7
	v_cndmask_b32_e64 v10, 0, 32, vcc
	v_ldexp_f32 v10, v7, v10
	v_log_f32_e32 v10, v10
	v_mov_b32_e32 v6, 0x42000000
	v_cndmask_b32_e32 v6, 0, v6, vcc
	v_sub_f32_e32 v6, v10, v6
	v_rndne_f32_e32 v6, v6
	v_cvt_i32_f32_e32 v6, v6
	v_max_i32_e32 v6, 0xffffff83, v6
	v_add_u32_e32 v6, 0x7d, v6
	v_min_u32_e32 v6, 0xfe, v6
.LBB5_7:
	s_or_b64 exec, exec, s[2:3]
	v_mov_b32_e32 v18, 0
	v_cmp_neq_f32_e32 vcc, 0, v7
	s_and_saveexec_b64 s[2:3], vcc
	s_cbranch_execz .LBB5_9
; %bb.8:
	v_lshlrev_b32_e32 v7, 23, v6
	v_div_scale_f32 v10, s[4:5], v7, v7, 1.0
	v_div_scale_f32 v11, vcc, 1.0, v7, 1.0
	v_rcp_f32_e32 v15, v10
	v_fma_f32 v16, -v10, v15, 1.0
	v_fmac_f32_e32 v15, v16, v15
	v_mul_f32_e32 v16, v11, v15
	v_fma_f32 v17, -v10, v16, v11
	v_fmac_f32_e32 v16, v17, v15
	v_fma_f32 v10, -v10, v16, v11
	v_div_fmas_f32 v10, v10, v15, v16
	v_mov_b32_e32 v11, 0x7f000000
	v_cmp_ne_u16_e32 vcc, 0, v6
	v_div_fixup_f32 v7, v10, v7, 1.0
	v_cndmask_b32_e32 v18, v11, v7, vcc
.LBB5_9:
	s_or_b64 exec, exec, s[2:3]
	s_lshr_b64 s[2:3], s[10:11], 8
	s_lshr_b32 s3, s11, 8
	s_ashr_i32 s4, s20, 31
	s_mul_i32 s3, s3, s8
	s_mul_hi_u32 s5, s2, s8
	s_mul_i32 s2, s2, s8
	s_add_i32 s3, s5, s3
	s_mul_i32 s4, s2, s4
	s_mul_hi_u32 s5, s2, s20
	s_mul_i32 s3, s3, s20
	s_add_i32 s4, s5, s4
	v_lshrrev_b32_e32 v7, 8, v1
	s_add_i32 s4, s4, s3
	s_mul_i32 s5, s2, s20
	v_mad_i64_i32 v[10:11], s[2:3], v7, s20, 0
	s_mulk_i32 s4, 0x90
	s_mul_hi_u32 s3, s5, 0x90
	s_add_i32 s3, s3, s4
	s_mulk_i32 s5, 0x90
	s_add_u32 s0, s0, s5
	s_addc_u32 s1, s1, s3
	v_mov_b32_e32 v16, s1
	s_movk_i32 s2, 0x90
	v_mov_b32_e32 v15, s0
	v_mad_u64_u32 v[15:16], s[0:1], v10, s2, v[15:16]
	v_lshrrev_b32_e32 v17, 1, v0
	v_and_b32_e32 v22, 0x1fe, v17
	v_mov_b32_e32 v10, v16
	v_mad_u64_u32 v[10:11], s[0:1], v11, s2, v[10:11]
	v_and_b32_e32 v5, 0x60, v5
	v_bfe_u32 v7, v1, 6, 2
	v_mov_b32_e32 v16, v10
	v_mov_b32_e32 v10, 0x90
	v_mad_u64_u32 v[10:11], s[0:1], s6, v10, v[15:16]
	v_and_or_b32 v15, v17, 30, v5
	v_add_u32_e32 v17, 17, v22
	v_and_or_b32 v5, v17, 31, v5
	v_lshlrev_b32_e32 v17, 2, v5
	v_lshlrev_b32_e32 v5, 5, v7
	v_and_b32_e32 v19, 3, v0
	v_add_co_u32_e32 v10, vcc, v10, v5
	v_cmp_eq_u32_e64 s[0:1], 0, v19
	v_addc_co_u32_e32 v11, vcc, 0, v11, vcc
	v_mul_f32_e64 v5, |v4|, v18
	v_fma_f32 v19, |v4|, v18, -0.5
	v_cmp_lt_f32_e64 vcc, |v19|, |v5|
	v_cndmask_b32_e32 v5, v5, v19, vcc
	v_fma_f32 v20, |v4|, v18, -1.0
	v_cndmask_b32_e64 v19, 0, 1, vcc
	v_cmp_lt_f32_e64 vcc, |v20|, |v5|
	s_mov_b32 s2, 0xbfc00000
	v_cndmask_b32_e32 v5, v5, v20, vcc
	v_fma_f32 v20, |v4|, v18, s2
	v_cndmask_b32_e64 v19, v19, 2, vcc
	v_cmp_lt_f32_e64 vcc, |v20|, |v5|
	v_cndmask_b32_e32 v5, v5, v20, vcc
	v_fma_f32 v20, |v4|, v18, -2.0
	v_cndmask_b32_e64 v19, v19, 3, vcc
	v_cmp_lt_f32_e64 vcc, |v20|, |v5|
	s_mov_b32 s2, 0xc0400000
	v_cndmask_b32_e32 v5, v5, v20, vcc
	v_fma_f32 v20, |v4|, v18, s2
	v_cndmask_b32_e64 v19, v19, 4, vcc
	v_cmp_lt_f32_e64 vcc, |v20|, |v5|
	v_cndmask_b32_e32 v5, v5, v20, vcc
	v_fma_f32 v20, |v4|, v18, -4.0
	v_cndmask_b32_e64 v19, v19, 5, vcc
	v_cmp_lt_f32_e64 vcc, |v20|, |v5|
	s_mov_b32 s2, 0xc0c00000
	v_cndmask_b32_e32 v5, v5, v20, vcc
	v_fma_f32 v18, |v4|, v18, s2
	v_cmp_gt_f32_e64 s[2:3], 0, v4
	v_cndmask_b32_e64 v19, v19, 6, vcc
	v_cmp_nlt_f32_e64 vcc, |v18|, |v5|
	v_lshlrev_b32_e32 v16, 2, v15
	v_cndmask_b32_e64 v4, 0, 8, s[2:3]
	v_cndmask_b32_e32 v5, 7, v19, vcc
	v_xor_b32_e32 v15, 64, v16
	v_or_b32_e32 v4, v5, v4
	ds_bpermute_b32 v18, v16, v4
	ds_bpermute_b32 v19, v16, v4 offset:4
	ds_bpermute_b32 v20, v15, v4
	ds_bpermute_b32 v21, v17, v4
	v_add_co_u32_e32 v4, vcc, v10, v22
	v_addc_co_u32_e32 v5, vcc, 0, v11, vcc
	s_and_saveexec_b64 s[2:3], s[0:1]
	s_cbranch_execz .LBB5_11
; %bb.10:
	s_waitcnt lgkmcnt(0)
	v_lshl_or_b32 v19, v21, 4, v19
	v_lshl_or_b32 v18, v20, 4, v18
	v_lshlrev_b16_e32 v19, 8, v19
	v_or_b32_sdwa v18, v18, v19 dst_sel:DWORD dst_unused:UNUSED_PAD src0_sel:BYTE_0 src1_sel:DWORD
	global_store_short v[4:5], v18, off offset:16
.LBB5_11:
	s_or_b64 exec, exec, s[2:3]
	s_waitcnt lgkmcnt(3)
	v_or_b32_e32 v18, 32, v1
	v_add_co_u32_e32 v18, vcc, v18, v0
	s_waitcnt lgkmcnt(2)
	v_addc_co_u32_e64 v19, s[2:3], 0, 0, vcc
	v_cmp_gt_i64_e32 vcc, s[12:13], v[18:19]
	v_mov_b32_e32 v1, 0
	v_mov_b32_e32 v18, 0
	s_and_saveexec_b64 s[2:3], vcc
	s_cbranch_execz .LBB5_13
; %bb.12:
	v_mov_b32_e32 v18, s9
	v_add_co_u32_e32 v2, vcc, s7, v2
	v_addc_co_u32_e32 v3, vcc, v18, v3, vcc
	global_load_dword v18, v[2:3], off offset:128
.LBB5_13:
	s_or_b64 exec, exec, s[2:3]
	s_waitcnt vmcnt(0)
	v_and_b32_e32 v2, 0x7fffffff, v18
	ds_bpermute_b32 v2, v8, v2
	v_max_f32_e64 v3, |v18|, |v18|
	s_waitcnt lgkmcnt(0)
	v_max_f32_e32 v2, v2, v2
	v_max_f32_e32 v2, v3, v2
	ds_bpermute_b32 v3, v9, v2
	s_waitcnt lgkmcnt(0)
	v_max_f32_e32 v3, v3, v3
	v_max_f32_e32 v2, v2, v3
	ds_bpermute_b32 v3, v12, v2
	;; [unrolled: 4-line block ×4, first 2 shown]
	s_waitcnt lgkmcnt(0)
	v_max_f32_e32 v3, v3, v3
	v_max_f32_e32 v8, v2, v3
	v_cmp_lt_f32_e32 vcc, 0, v8
	s_and_saveexec_b64 s[2:3], vcc
	s_cbranch_execz .LBB5_15
; %bb.14:
	s_mov_b32 s4, 0x800000
	v_cmp_gt_f32_e32 vcc, s4, v8
	v_cndmask_b32_e64 v2, 0, 32, vcc
	v_ldexp_f32 v2, v8, v2
	v_log_f32_e32 v2, v2
	v_mov_b32_e32 v1, 0x42000000
	v_cndmask_b32_e32 v1, 0, v1, vcc
	v_sub_f32_e32 v1, v2, v1
	v_rndne_f32_e32 v1, v1
	v_cvt_i32_f32_e32 v1, v1
	v_max_i32_e32 v1, 0xffffff83, v1
	v_add_u32_e32 v1, 0x7d, v1
	v_min_u32_e32 v1, 0xfe, v1
.LBB5_15:
	s_or_b64 exec, exec, s[2:3]
	v_or_b32_e32 v2, 4, v16
	v_mov_b32_e32 v3, 0
	v_cmp_neq_f32_e32 vcc, 0, v8
	s_and_saveexec_b64 s[2:3], vcc
	s_cbranch_execz .LBB5_17
; %bb.16:
	v_lshlrev_b32_e32 v3, 23, v1
	v_div_scale_f32 v8, s[4:5], v3, v3, 1.0
	v_div_scale_f32 v9, vcc, 1.0, v3, 1.0
	v_rcp_f32_e32 v12, v8
	v_fma_f32 v13, -v8, v12, 1.0
	v_fmac_f32_e32 v12, v13, v12
	v_mul_f32_e32 v13, v9, v12
	v_fma_f32 v14, -v8, v13, v9
	v_fmac_f32_e32 v13, v14, v12
	v_fma_f32 v8, -v8, v13, v9
	v_div_fmas_f32 v8, v8, v12, v13
	v_mov_b32_e32 v9, 0x7f000000
	v_cmp_ne_u16_e32 vcc, 0, v1
	v_div_fixup_f32 v3, v8, v3, 1.0
	v_cndmask_b32_e32 v3, v9, v3, vcc
.LBB5_17:
	s_or_b64 exec, exec, s[2:3]
	v_mul_f32_e64 v8, |v18|, v3
	v_fma_f32 v9, |v18|, v3, -0.5
	v_cmp_lt_f32_e64 vcc, |v9|, |v8|
	v_cndmask_b32_e32 v8, v8, v9, vcc
	v_fma_f32 v12, |v18|, v3, -1.0
	v_cndmask_b32_e64 v9, 0, 1, vcc
	v_cmp_lt_f32_e64 vcc, |v12|, |v8|
	s_mov_b32 s2, 0xbfc00000
	v_cndmask_b32_e32 v8, v8, v12, vcc
	v_fma_f32 v12, |v18|, v3, s2
	v_cndmask_b32_e64 v9, v9, 2, vcc
	v_cmp_lt_f32_e64 vcc, |v12|, |v8|
	v_cndmask_b32_e32 v8, v8, v12, vcc
	v_fma_f32 v12, |v18|, v3, -2.0
	v_cndmask_b32_e64 v9, v9, 3, vcc
	v_cmp_lt_f32_e64 vcc, |v12|, |v8|
	s_mov_b32 s2, 0xc0400000
	v_cndmask_b32_e32 v8, v8, v12, vcc
	v_fma_f32 v12, |v18|, v3, s2
	v_cndmask_b32_e64 v9, v9, 4, vcc
	v_cmp_lt_f32_e64 vcc, |v12|, |v8|
	v_cndmask_b32_e32 v8, v8, v12, vcc
	v_fma_f32 v12, |v18|, v3, -4.0
	v_cndmask_b32_e64 v9, v9, 5, vcc
	v_cmp_lt_f32_e64 vcc, |v12|, |v8|
	s_mov_b32 s2, 0xc0c00000
	v_cndmask_b32_e32 v8, v8, v12, vcc
	v_fma_f32 v3, |v18|, v3, s2
	v_cmp_gt_f32_e64 s[2:3], 0, v18
	v_cndmask_b32_e64 v9, v9, 6, vcc
	v_cmp_nlt_f32_e64 vcc, |v3|, |v8|
	v_cndmask_b32_e64 v12, 0, 8, s[2:3]
	v_cndmask_b32_e32 v3, 7, v9, vcc
	v_or_b32_e32 v9, v3, v12
	ds_bpermute_b32 v3, v16, v9
	ds_bpermute_b32 v2, v2, v9
	;; [unrolled: 1-line block ×4, first 2 shown]
	s_and_saveexec_b64 s[2:3], s[0:1]
	s_cbranch_execz .LBB5_19
; %bb.18:
	s_waitcnt lgkmcnt(0)
	v_lshl_or_b32 v2, v9, 4, v2
	v_lshl_or_b32 v3, v8, 4, v3
	v_lshlrev_b16_e32 v2, 8, v2
	v_or_b32_sdwa v2, v3, v2 dst_sel:DWORD dst_unused:UNUSED_PAD src0_sel:BYTE_0 src1_sel:DWORD
	global_store_short v[4:5], v2, off offset:32
.LBB5_19:
	s_or_b64 exec, exec, s[2:3]
	v_cmp_eq_u32_e32 vcc, 0, v0
	s_and_b64 exec, exec, vcc
	s_cbranch_execz .LBB5_21
; %bb.20:
	s_waitcnt lgkmcnt(2)
	v_mul_i32_i24_e32 v2, 0xffffffe4, v7
	v_mul_hi_i32_i24_e32 v0, 0xffffffe4, v7
	v_add_co_u32_e32 v2, vcc, v10, v2
	v_addc_co_u32_e32 v3, vcc, v11, v0, vcc
	v_lshlrev_b16_e32 v0, 8, v1
	v_or_b32_e32 v0, v6, v0
	v_and_b32_e32 v0, 0xffff, v0
	global_store_dword v[2:3], v0, off
.LBB5_21:
	s_endpgm
	.section	.rodata,"a",@progbits
	.p2align	6, 0x0
	.amdhsa_kernel _ZL18quantize_mmq_mxfp4PKfPKiPvlllllii
		.amdhsa_group_segment_fixed_size 0
		.amdhsa_private_segment_fixed_size 0
		.amdhsa_kernarg_size 328
		.amdhsa_user_sgpr_count 6
		.amdhsa_user_sgpr_private_segment_buffer 1
		.amdhsa_user_sgpr_dispatch_ptr 0
		.amdhsa_user_sgpr_queue_ptr 0
		.amdhsa_user_sgpr_kernarg_segment_ptr 1
		.amdhsa_user_sgpr_dispatch_id 0
		.amdhsa_user_sgpr_flat_scratch_init 0
		.amdhsa_user_sgpr_private_segment_size 0
		.amdhsa_uses_dynamic_stack 0
		.amdhsa_system_sgpr_private_segment_wavefront_offset 0
		.amdhsa_system_sgpr_workgroup_id_x 1
		.amdhsa_system_sgpr_workgroup_id_y 1
		.amdhsa_system_sgpr_workgroup_id_z 1
		.amdhsa_system_sgpr_workgroup_info 0
		.amdhsa_system_vgpr_workitem_id 1
		.amdhsa_next_free_vgpr 23
		.amdhsa_next_free_sgpr 24
		.amdhsa_reserve_vcc 1
		.amdhsa_reserve_flat_scratch 0
		.amdhsa_float_round_mode_32 0
		.amdhsa_float_round_mode_16_64 0
		.amdhsa_float_denorm_mode_32 3
		.amdhsa_float_denorm_mode_16_64 3
		.amdhsa_dx10_clamp 1
		.amdhsa_ieee_mode 1
		.amdhsa_fp16_overflow 0
		.amdhsa_exception_fp_ieee_invalid_op 0
		.amdhsa_exception_fp_denorm_src 0
		.amdhsa_exception_fp_ieee_div_zero 0
		.amdhsa_exception_fp_ieee_overflow 0
		.amdhsa_exception_fp_ieee_underflow 0
		.amdhsa_exception_fp_ieee_inexact 0
		.amdhsa_exception_int_div_zero 0
	.end_amdhsa_kernel
	.section	.text._ZL18quantize_mmq_mxfp4PKfPKiPvlllllii,"axG",@progbits,_ZL18quantize_mmq_mxfp4PKfPKiPvlllllii,comdat
.Lfunc_end5:
	.size	_ZL18quantize_mmq_mxfp4PKfPKiPvlllllii, .Lfunc_end5-_ZL18quantize_mmq_mxfp4PKfPKiPvlllllii
                                        ; -- End function
	.set _ZL18quantize_mmq_mxfp4PKfPKiPvlllllii.num_vgpr, 23
	.set _ZL18quantize_mmq_mxfp4PKfPKiPvlllllii.num_agpr, 0
	.set _ZL18quantize_mmq_mxfp4PKfPKiPvlllllii.numbered_sgpr, 24
	.set _ZL18quantize_mmq_mxfp4PKfPKiPvlllllii.num_named_barrier, 0
	.set _ZL18quantize_mmq_mxfp4PKfPKiPvlllllii.private_seg_size, 0
	.set _ZL18quantize_mmq_mxfp4PKfPKiPvlllllii.uses_vcc, 1
	.set _ZL18quantize_mmq_mxfp4PKfPKiPvlllllii.uses_flat_scratch, 0
	.set _ZL18quantize_mmq_mxfp4PKfPKiPvlllllii.has_dyn_sized_stack, 0
	.set _ZL18quantize_mmq_mxfp4PKfPKiPvlllllii.has_recursion, 0
	.set _ZL18quantize_mmq_mxfp4PKfPKiPvlllllii.has_indirect_call, 0
	.section	.AMDGPU.csdata,"",@progbits
; Kernel info:
; codeLenInByte = 2168
; TotalNumSgprs: 28
; NumVgprs: 23
; ScratchSize: 0
; MemoryBound: 0
; FloatMode: 240
; IeeeMode: 1
; LDSByteSize: 0 bytes/workgroup (compile time only)
; SGPRBlocks: 3
; VGPRBlocks: 5
; NumSGPRsForWavesPerEU: 28
; NumVGPRsForWavesPerEU: 23
; Occupancy: 10
; WaveLimiterHint : 0
; COMPUTE_PGM_RSRC2:SCRATCH_EN: 0
; COMPUTE_PGM_RSRC2:USER_SGPR: 6
; COMPUTE_PGM_RSRC2:TRAP_HANDLER: 0
; COMPUTE_PGM_RSRC2:TGID_X_EN: 1
; COMPUTE_PGM_RSRC2:TGID_Y_EN: 1
; COMPUTE_PGM_RSRC2:TGID_Z_EN: 1
; COMPUTE_PGM_RSRC2:TIDIG_COMP_CNT: 1
	.section	.text._ZL17quantize_mmq_q8_1IL18mmq_q8_1_ds_layout0EEvPKfPKiPvlllllii,"axG",@progbits,_ZL17quantize_mmq_q8_1IL18mmq_q8_1_ds_layout0EEvPKfPKiPvlllllii,comdat
	.globl	_ZL17quantize_mmq_q8_1IL18mmq_q8_1_ds_layout0EEvPKfPKiPvlllllii ; -- Begin function _ZL17quantize_mmq_q8_1IL18mmq_q8_1_ds_layout0EEvPKfPKiPvlllllii
	.p2align	8
	.type	_ZL17quantize_mmq_q8_1IL18mmq_q8_1_ds_layout0EEvPKfPKiPvlllllii,@function
_ZL17quantize_mmq_q8_1IL18mmq_q8_1_ds_layout0EEvPKfPKiPvlllllii: ; @_ZL17quantize_mmq_q8_1IL18mmq_q8_1_ds_layout0EEvPKfPKiPvlllllii
; %bb.0:
	s_load_dword s0, s[4:5], 0x54
	s_add_u32 s22, s4, 0x48
	s_addc_u32 s23, s5, 0
	v_mov_b32_e32 v1, 0
	v_mov_b32_e32 v2, s7
	s_waitcnt lgkmcnt(0)
	s_and_b32 s9, s0, 0xffff
	v_mad_u64_u32 v[4:5], s[0:1], s9, v2, v[0:1]
	s_load_dwordx2 s[0:1], s[4:5], 0x38
	v_lshlrev_b64 v[7:8], 2, v[4:5]
	s_waitcnt lgkmcnt(0)
	v_cmp_gt_i64_e32 vcc, s[0:1], v[7:8]
	s_and_saveexec_b64 s[0:1], vcc
	s_cbranch_execz .LBB6_7
; %bb.1:
	s_load_dwordx2 s[10:11], s[4:5], 0x40
	s_load_dwordx4 s[0:3], s[4:5], 0x8
	s_load_dwordx8 s[12:19], s[4:5], 0x18
	s_mov_b32 s7, 0
	s_mov_b64 s[20:21], s[6:7]
	s_waitcnt lgkmcnt(0)
	v_cvt_f32_u32_e32 v0, s11
	s_cmp_eq_u64 s[0:1], 0
	v_rcp_iflag_f32_e32 v0, v0
	v_mul_f32_e32 v0, 0x4f7ffffe, v0
	v_cvt_u32_f32_e32 v0, v0
	v_readfirstlane_b32 s24, v0
	s_cbranch_scc1 .LBB6_3
; %bb.2:
	s_lshl_b64 s[20:21], s[6:7], 2
	s_add_u32 s0, s0, s20
	s_addc_u32 s1, s1, s21
	s_load_dword s20, s[0:1], 0x0
	s_waitcnt lgkmcnt(0)
	s_ashr_i32 s21, s20, 31
.LBB6_3:
	s_load_dwordx2 s[0:1], s[22:23], 0x0
	v_cmp_gt_i64_e32 vcc, s[12:13], v[7:8]
	v_mov_b32_e32 v6, 0
	v_mov_b32_e32 v0, 0
	;; [unrolled: 1-line block ×5, first 2 shown]
	s_and_saveexec_b64 s[12:13], vcc
	s_cbranch_execz .LBB6_5
; %bb.4:
	s_sub_i32 s7, 0, s11
	s_mul_i32 s7, s7, s24
	s_mul_hi_u32 s7, s24, s7
	s_add_i32 s24, s24, s7
	s_mul_hi_u32 s7, s8, s24
	s_mul_i32 s22, s7, s11
	s_sub_i32 s22, s8, s22
	s_add_i32 s23, s7, 1
	s_sub_i32 s24, s22, s11
	s_cmp_ge_u32 s22, s11
	s_cselect_b32 s7, s23, s7
	s_cselect_b32 s22, s24, s22
	s_add_i32 s23, s7, 1
	s_cmp_ge_u32 s22, s11
	s_cselect_b32 s7, s23, s7
	s_mul_i32 s11, s7, s11
	s_sub_i32 s11, s8, s11
	v_mov_b32_e32 v0, s11
	v_mad_u64_u32 v[0:1], s[22:23], s16, v0, v[7:8]
	s_mul_i32 s11, s17, s11
	v_mov_b32_e32 v2, s7
	v_add_u32_e32 v1, s11, v1
	v_mad_u64_u32 v[0:1], s[16:17], s18, v2, v[0:1]
	s_mul_i32 s7, s19, s7
	v_mov_b32_e32 v2, s14
	v_add_u32_e32 v1, s7, v1
	v_mad_u64_u32 v[0:1], s[16:17], s20, v2, v[0:1]
	s_mul_i32 s7, s21, s14
	s_mul_i32 s11, s20, s15
	s_add_i32 s11, s11, s7
	v_add_u32_e32 v1, s11, v1
	v_ashrrev_i32_e32 v2, 31, v1
	v_lshrrev_b32_e32 v2, 30, v2
	s_load_dwordx2 s[4:5], s[4:5], 0x0
	v_add_co_u32_e32 v0, vcc, v0, v2
	v_addc_co_u32_e32 v1, vcc, 0, v1, vcc
	v_lshlrev_b64 v[0:1], 2, v[0:1]
	s_waitcnt lgkmcnt(0)
	v_mov_b32_e32 v2, s5
	v_and_b32_e32 v0, -16, v0
	v_add_co_u32_e32 v0, vcc, s4, v0
	v_addc_co_u32_e32 v1, vcc, v2, v1, vcc
	global_load_dwordx4 v[0:3], v[0:1], off
.LBB6_5:
	s_or_b64 exec, exec, s[12:13]
	s_waitcnt vmcnt(0)
	v_max_f32_e64 v8, |v1|, |v1|
	v_max_f32_e64 v9, |v0|, |v0|
	v_max_f32_e32 v8, v9, v8
	v_mbcnt_lo_u32_b32 v9, -1, 0
	v_mbcnt_hi_u32_b32 v9, -1, v9
	v_and_b32_e32 v10, 0x60, v9
	v_add_u32_e32 v10, 32, v10
	v_xor_b32_e32 v11, 4, v9
	v_cmp_lt_i32_e32 vcc, v11, v10
	v_cndmask_b32_e32 v11, v9, v11, vcc
	v_max3_f32 v8, v8, |v2|, |v3|
	v_lshlrev_b32_e32 v11, 2, v11
	ds_bpermute_b32 v11, v11, v8
	s_mov_b32 s7, 0x42fe0000
	v_and_b32_e32 v7, 0x7c, v7
	s_waitcnt lgkmcnt(0)
	v_max_f32_e32 v11, v11, v11
	v_max_f32_e32 v8, v8, v11
	v_xor_b32_e32 v11, 2, v9
	v_cmp_lt_i32_e32 vcc, v11, v10
	v_cndmask_b32_e32 v11, v9, v11, vcc
	v_lshlrev_b32_e32 v11, 2, v11
	ds_bpermute_b32 v11, v11, v8
	s_waitcnt lgkmcnt(0)
	v_max_f32_e32 v11, v11, v11
	v_max_f32_e32 v8, v8, v11
	v_xor_b32_e32 v11, 1, v9
	v_cmp_lt_i32_e32 vcc, v11, v10
	v_cndmask_b32_e32 v9, v9, v11, vcc
	v_lshlrev_b32_e32 v9, 2, v9
	ds_bpermute_b32 v9, v9, v8
	v_alignbit_b32 v11, v5, v4, 5
	v_lshrrev_b32_e32 v5, 5, v5
	v_mul_lo_u32 v5, v5, s10
	s_waitcnt lgkmcnt(0)
	v_max_f32_e32 v9, v9, v9
	v_max_f32_e32 v8, v8, v9
	v_div_scale_f32 v9, s[4:5], v8, v8, s7
	v_div_scale_f32 v10, vcc, s7, v8, s7
	s_mul_i32 s4, s9, s0
	s_mul_hi_u32 s0, s9, s0
	s_ashr_i32 s5, s10, 31
	s_mul_i32 s11, s0, s1
	s_mul_hi_u32 s12, s4, s1
	s_mul_i32 s0, s4, s1
	s_add_i32 s1, s12, s11
	s_brev_b32 s9, -2
	v_rcp_f32_e32 v12, v9
	v_fma_f32 v13, -v9, v12, 1.0
	v_fmac_f32_e32 v12, v13, v12
	v_mul_f32_e32 v13, v10, v12
	v_fma_f32 v14, -v9, v13, v10
	v_fmac_f32_e32 v13, v14, v12
	v_fma_f32 v9, -v9, v13, v10
	v_div_fmas_f32 v12, v9, v12, v13
	v_mul_lo_u32 v13, v11, s5
	v_mad_u64_u32 v[9:10], s[4:5], v11, s10, 0
	s_lshr_b64 s[4:5], s[0:1], 5
	s_lshr_b32 s0, s1, 5
	v_add3_u32 v5, v10, v13, v5
	s_mul_i32 s0, s0, s8
	s_mul_hi_u32 s1, s4, s8
	s_add_i32 s5, s1, s0
	s_mul_i32 s4, s4, s8
	s_mulk_i32 s5, 0x90
	v_div_fixup_f32 v8, v12, v8, s7
	v_mul_f32_e32 v0, v0, v8
	v_trunc_f32_e32 v10, v0
	v_sub_f32_e32 v12, v0, v10
	v_mul_f32_e32 v1, v1, v8
	v_cmp_ge_f32_e64 s[0:1], |v12|, 0.5
	v_trunc_f32_e32 v11, v1
	v_cndmask_b32_e64 v12, 0, 1.0, s[0:1]
	v_sub_f32_e32 v13, v1, v11
	v_bfi_b32 v0, s9, v12, v0
	v_add_f32_e32 v0, v10, v0
	v_cmp_ge_f32_e64 s[0:1], |v13|, 0.5
	v_cvt_i32_f32_e32 v10, v0
	v_cndmask_b32_e64 v0, 0, 1.0, s[0:1]
	v_bfi_b32 v0, s9, v0, v1
	v_add_f32_e32 v0, v11, v0
	v_cvt_i32_f32_sdwa v11, v0 dst_sel:BYTE_1 dst_unused:UNUSED_PAD src0_sel:DWORD
	v_mul_f32_e32 v0, v2, v8
	v_trunc_f32_e32 v1, v0
	v_sub_f32_e32 v2, v0, v1
	v_cmp_ge_f32_e64 s[0:1], |v2|, 0.5
	v_cndmask_b32_e64 v2, 0, 1.0, s[0:1]
	s_mul_hi_u32 s0, s4, 0x90
	v_bfi_b32 v0, s9, v2, v0
	s_add_i32 s1, s0, s5
	s_mulk_i32 s4, 0x90
	v_add_f32_e32 v0, v1, v0
	s_add_u32 s0, s2, s4
	v_cvt_i32_f32_e32 v12, v0
	s_addc_u32 s1, s3, s1
	v_mov_b32_e32 v0, s0
	s_movk_i32 s7, 0x90
	v_mov_b32_e32 v1, s1
	v_mad_u64_u32 v[0:1], s[0:1], v9, s7, v[0:1]
	v_mul_f32_e32 v3, v3, v8
	v_trunc_f32_e32 v9, v3
	v_sub_f32_e32 v13, v3, v9
	v_mad_u64_u32 v[1:2], s[0:1], v5, s7, v[1:2]
	v_cmp_ge_f32_e64 s[0:1], |v13|, 0.5
	v_cndmask_b32_e64 v2, 0, 1.0, s[0:1]
	v_bfi_b32 v2, s9, v2, v3
	v_mov_b32_e32 v3, 0x90
	v_add_f32_e32 v2, v9, v2
	v_mad_u64_u32 v[0:1], s[0:1], s6, v3, v[0:1]
	v_cvt_i32_f32_sdwa v5, v2 dst_sel:BYTE_1 dst_unused:UNUSED_PAD src0_sel:DWORD
	v_or_b32_sdwa v9, v10, v11 dst_sel:DWORD dst_unused:UNUSED_PAD src0_sel:BYTE_0 src1_sel:DWORD
	v_add_co_u32_e32 v2, vcc, v0, v7
	v_or_b32_sdwa v5, v12, v5 dst_sel:WORD_1 dst_unused:UNUSED_PAD src0_sel:BYTE_0 src1_sel:DWORD
	v_addc_co_u32_e32 v3, vcc, 0, v1, vcc
	v_or_b32_sdwa v9, v9, v5 dst_sel:DWORD dst_unused:UNUSED_PAD src0_sel:WORD_0 src1_sel:DWORD
	v_and_b32_e32 v5, 7, v4
	v_cmp_eq_u64_e32 vcc, 0, v[5:6]
	global_store_dword v[2:3], v9, off offset:16
	s_and_b64 exec, exec, vcc
	s_cbranch_execz .LBB6_7
; %bb.6:
	v_div_scale_f32 v2, s[0:1], v8, v8, 1.0
	v_div_scale_f32 v3, vcc, 1.0, v8, 1.0
	v_rcp_f32_e32 v4, v2
	v_fma_f32 v5, -v2, v4, 1.0
	v_fmac_f32_e32 v4, v5, v4
	v_mul_f32_e32 v5, v3, v4
	v_fma_f32 v6, -v2, v5, v3
	v_fmac_f32_e32 v5, v6, v4
	v_fma_f32 v2, -v2, v5, v3
	v_div_fmas_f32 v2, v2, v4, v5
	v_lshrrev_b32_e32 v3, 3, v7
	v_add_co_u32_e32 v0, vcc, v0, v3
	v_addc_co_u32_e32 v1, vcc, 0, v1, vcc
	v_div_fixup_f32 v2, v2, v8, 1.0
	global_store_dword v[0:1], v2, off
.LBB6_7:
	s_endpgm
	.section	.rodata,"a",@progbits
	.p2align	6, 0x0
	.amdhsa_kernel _ZL17quantize_mmq_q8_1IL18mmq_q8_1_ds_layout0EEvPKfPKiPvlllllii
		.amdhsa_group_segment_fixed_size 0
		.amdhsa_private_segment_fixed_size 0
		.amdhsa_kernarg_size 328
		.amdhsa_user_sgpr_count 6
		.amdhsa_user_sgpr_private_segment_buffer 1
		.amdhsa_user_sgpr_dispatch_ptr 0
		.amdhsa_user_sgpr_queue_ptr 0
		.amdhsa_user_sgpr_kernarg_segment_ptr 1
		.amdhsa_user_sgpr_dispatch_id 0
		.amdhsa_user_sgpr_flat_scratch_init 0
		.amdhsa_user_sgpr_private_segment_size 0
		.amdhsa_uses_dynamic_stack 0
		.amdhsa_system_sgpr_private_segment_wavefront_offset 0
		.amdhsa_system_sgpr_workgroup_id_x 1
		.amdhsa_system_sgpr_workgroup_id_y 1
		.amdhsa_system_sgpr_workgroup_id_z 1
		.amdhsa_system_sgpr_workgroup_info 0
		.amdhsa_system_vgpr_workitem_id 0
		.amdhsa_next_free_vgpr 15
		.amdhsa_next_free_sgpr 25
		.amdhsa_reserve_vcc 1
		.amdhsa_reserve_flat_scratch 0
		.amdhsa_float_round_mode_32 0
		.amdhsa_float_round_mode_16_64 0
		.amdhsa_float_denorm_mode_32 3
		.amdhsa_float_denorm_mode_16_64 3
		.amdhsa_dx10_clamp 1
		.amdhsa_ieee_mode 1
		.amdhsa_fp16_overflow 0
		.amdhsa_exception_fp_ieee_invalid_op 0
		.amdhsa_exception_fp_denorm_src 0
		.amdhsa_exception_fp_ieee_div_zero 0
		.amdhsa_exception_fp_ieee_overflow 0
		.amdhsa_exception_fp_ieee_underflow 0
		.amdhsa_exception_fp_ieee_inexact 0
		.amdhsa_exception_int_div_zero 0
	.end_amdhsa_kernel
	.section	.text._ZL17quantize_mmq_q8_1IL18mmq_q8_1_ds_layout0EEvPKfPKiPvlllllii,"axG",@progbits,_ZL17quantize_mmq_q8_1IL18mmq_q8_1_ds_layout0EEvPKfPKiPvlllllii,comdat
.Lfunc_end6:
	.size	_ZL17quantize_mmq_q8_1IL18mmq_q8_1_ds_layout0EEvPKfPKiPvlllllii, .Lfunc_end6-_ZL17quantize_mmq_q8_1IL18mmq_q8_1_ds_layout0EEvPKfPKiPvlllllii
                                        ; -- End function
	.set _ZL17quantize_mmq_q8_1IL18mmq_q8_1_ds_layout0EEvPKfPKiPvlllllii.num_vgpr, 15
	.set _ZL17quantize_mmq_q8_1IL18mmq_q8_1_ds_layout0EEvPKfPKiPvlllllii.num_agpr, 0
	.set _ZL17quantize_mmq_q8_1IL18mmq_q8_1_ds_layout0EEvPKfPKiPvlllllii.numbered_sgpr, 25
	.set _ZL17quantize_mmq_q8_1IL18mmq_q8_1_ds_layout0EEvPKfPKiPvlllllii.num_named_barrier, 0
	.set _ZL17quantize_mmq_q8_1IL18mmq_q8_1_ds_layout0EEvPKfPKiPvlllllii.private_seg_size, 0
	.set _ZL17quantize_mmq_q8_1IL18mmq_q8_1_ds_layout0EEvPKfPKiPvlllllii.uses_vcc, 1
	.set _ZL17quantize_mmq_q8_1IL18mmq_q8_1_ds_layout0EEvPKfPKiPvlllllii.uses_flat_scratch, 0
	.set _ZL17quantize_mmq_q8_1IL18mmq_q8_1_ds_layout0EEvPKfPKiPvlllllii.has_dyn_sized_stack, 0
	.set _ZL17quantize_mmq_q8_1IL18mmq_q8_1_ds_layout0EEvPKfPKiPvlllllii.has_recursion, 0
	.set _ZL17quantize_mmq_q8_1IL18mmq_q8_1_ds_layout0EEvPKfPKiPvlllllii.has_indirect_call, 0
	.section	.AMDGPU.csdata,"",@progbits
; Kernel info:
; codeLenInByte = 1180
; TotalNumSgprs: 29
; NumVgprs: 15
; ScratchSize: 0
; MemoryBound: 0
; FloatMode: 240
; IeeeMode: 1
; LDSByteSize: 0 bytes/workgroup (compile time only)
; SGPRBlocks: 3
; VGPRBlocks: 3
; NumSGPRsForWavesPerEU: 29
; NumVGPRsForWavesPerEU: 15
; Occupancy: 10
; WaveLimiterHint : 0
; COMPUTE_PGM_RSRC2:SCRATCH_EN: 0
; COMPUTE_PGM_RSRC2:USER_SGPR: 6
; COMPUTE_PGM_RSRC2:TRAP_HANDLER: 0
; COMPUTE_PGM_RSRC2:TGID_X_EN: 1
; COMPUTE_PGM_RSRC2:TGID_Y_EN: 1
; COMPUTE_PGM_RSRC2:TGID_Z_EN: 1
; COMPUTE_PGM_RSRC2:TIDIG_COMP_CNT: 0
	.section	.text._ZL17quantize_mmq_q8_1IL18mmq_q8_1_ds_layout1EEvPKfPKiPvlllllii,"axG",@progbits,_ZL17quantize_mmq_q8_1IL18mmq_q8_1_ds_layout1EEvPKfPKiPvlllllii,comdat
	.globl	_ZL17quantize_mmq_q8_1IL18mmq_q8_1_ds_layout1EEvPKfPKiPvlllllii ; -- Begin function _ZL17quantize_mmq_q8_1IL18mmq_q8_1_ds_layout1EEvPKfPKiPvlllllii
	.p2align	8
	.type	_ZL17quantize_mmq_q8_1IL18mmq_q8_1_ds_layout1EEvPKfPKiPvlllllii,@function
_ZL17quantize_mmq_q8_1IL18mmq_q8_1_ds_layout1EEvPKfPKiPvlllllii: ; @_ZL17quantize_mmq_q8_1IL18mmq_q8_1_ds_layout1EEvPKfPKiPvlllllii
; %bb.0:
	s_load_dword s0, s[4:5], 0x54
	s_add_u32 s22, s4, 0x48
	s_addc_u32 s23, s5, 0
	v_mov_b32_e32 v1, 0
	v_mov_b32_e32 v2, s7
	s_waitcnt lgkmcnt(0)
	s_and_b32 s9, s0, 0xffff
	v_mad_u64_u32 v[4:5], s[0:1], s9, v2, v[0:1]
	s_load_dwordx2 s[0:1], s[4:5], 0x38
	v_lshlrev_b64 v[7:8], 2, v[4:5]
	s_waitcnt lgkmcnt(0)
	v_cmp_gt_i64_e32 vcc, s[0:1], v[7:8]
	s_and_saveexec_b64 s[0:1], vcc
	s_cbranch_execz .LBB7_7
; %bb.1:
	s_load_dwordx2 s[10:11], s[4:5], 0x40
	s_load_dwordx4 s[0:3], s[4:5], 0x8
	s_load_dwordx8 s[12:19], s[4:5], 0x18
	s_mov_b32 s7, 0
	s_mov_b64 s[20:21], s[6:7]
	s_waitcnt lgkmcnt(0)
	v_cvt_f32_u32_e32 v0, s11
	s_cmp_eq_u64 s[0:1], 0
	v_rcp_iflag_f32_e32 v0, v0
	v_mul_f32_e32 v0, 0x4f7ffffe, v0
	v_cvt_u32_f32_e32 v0, v0
	v_readfirstlane_b32 s24, v0
	s_cbranch_scc1 .LBB7_3
; %bb.2:
	s_lshl_b64 s[20:21], s[6:7], 2
	s_add_u32 s0, s0, s20
	s_addc_u32 s1, s1, s21
	s_load_dword s20, s[0:1], 0x0
	s_waitcnt lgkmcnt(0)
	s_ashr_i32 s21, s20, 31
.LBB7_3:
	s_load_dwordx2 s[0:1], s[22:23], 0x0
	v_cmp_gt_i64_e32 vcc, s[12:13], v[7:8]
	v_mov_b32_e32 v6, 0
	v_mov_b32_e32 v0, 0
	;; [unrolled: 1-line block ×5, first 2 shown]
	s_and_saveexec_b64 s[12:13], vcc
	s_cbranch_execz .LBB7_5
; %bb.4:
	s_sub_i32 s7, 0, s11
	s_mul_i32 s7, s7, s24
	s_mul_hi_u32 s7, s24, s7
	s_add_i32 s24, s24, s7
	s_mul_hi_u32 s7, s8, s24
	s_mul_i32 s22, s7, s11
	s_sub_i32 s22, s8, s22
	s_add_i32 s23, s7, 1
	s_sub_i32 s24, s22, s11
	s_cmp_ge_u32 s22, s11
	s_cselect_b32 s7, s23, s7
	s_cselect_b32 s22, s24, s22
	s_add_i32 s23, s7, 1
	s_cmp_ge_u32 s22, s11
	s_cselect_b32 s7, s23, s7
	s_mul_i32 s11, s7, s11
	s_sub_i32 s11, s8, s11
	v_mov_b32_e32 v0, s11
	v_mad_u64_u32 v[0:1], s[22:23], s16, v0, v[7:8]
	s_mul_i32 s11, s17, s11
	v_mov_b32_e32 v2, s7
	v_add_u32_e32 v1, s11, v1
	v_mad_u64_u32 v[0:1], s[16:17], s18, v2, v[0:1]
	s_mul_i32 s7, s19, s7
	v_mov_b32_e32 v2, s14
	v_add_u32_e32 v1, s7, v1
	v_mad_u64_u32 v[0:1], s[16:17], s20, v2, v[0:1]
	s_mul_i32 s7, s21, s14
	s_mul_i32 s11, s20, s15
	s_add_i32 s11, s11, s7
	v_add_u32_e32 v1, s11, v1
	v_ashrrev_i32_e32 v2, 31, v1
	v_lshrrev_b32_e32 v2, 30, v2
	s_load_dwordx2 s[4:5], s[4:5], 0x0
	v_add_co_u32_e32 v0, vcc, v0, v2
	v_addc_co_u32_e32 v1, vcc, 0, v1, vcc
	v_lshlrev_b64 v[0:1], 2, v[0:1]
	s_waitcnt lgkmcnt(0)
	v_mov_b32_e32 v2, s5
	v_and_b32_e32 v0, -16, v0
	v_add_co_u32_e32 v0, vcc, s4, v0
	v_addc_co_u32_e32 v1, vcc, v2, v1, vcc
	global_load_dwordx4 v[0:3], v[0:1], off
.LBB7_5:
	s_or_b64 exec, exec, s[12:13]
	s_waitcnt vmcnt(0)
	v_max_f32_e64 v8, |v1|, |v1|
	v_max_f32_e64 v9, |v0|, |v0|
	v_max_f32_e32 v8, v9, v8
	v_mbcnt_lo_u32_b32 v9, -1, 0
	v_mbcnt_hi_u32_b32 v9, -1, v9
	v_and_b32_e32 v10, 0x60, v9
	v_add_u32_e32 v10, 32, v10
	v_xor_b32_e32 v11, 4, v9
	v_cmp_lt_i32_e32 vcc, v11, v10
	v_cndmask_b32_e32 v11, v9, v11, vcc
	v_max3_f32 v8, v8, |v2|, |v3|
	v_lshlrev_b32_e32 v11, 2, v11
	ds_bpermute_b32 v12, v11, v8
	s_mov_b32 s7, 0x42fe0000
	v_alignbit_b32 v14, v5, v4, 5
	v_lshrrev_b32_e32 v5, 5, v5
	v_mul_lo_u32 v5, v5, s10
	s_waitcnt lgkmcnt(0)
	v_max_f32_e32 v12, v12, v12
	v_max_f32_e32 v8, v8, v12
	v_xor_b32_e32 v12, 2, v9
	v_cmp_lt_i32_e32 vcc, v12, v10
	v_cndmask_b32_e32 v12, v9, v12, vcc
	v_lshlrev_b32_e32 v13, 2, v12
	ds_bpermute_b32 v12, v13, v8
	v_and_b32_e32 v7, 0x7c, v7
	s_waitcnt lgkmcnt(0)
	v_max_f32_e32 v12, v12, v12
	v_max_f32_e32 v8, v8, v12
	v_xor_b32_e32 v12, 1, v9
	v_cmp_lt_i32_e32 vcc, v12, v10
	v_cndmask_b32_e32 v9, v9, v12, vcc
	v_lshlrev_b32_e32 v10, 2, v9
	ds_bpermute_b32 v9, v10, v8
	s_waitcnt lgkmcnt(0)
	v_max_f32_e32 v9, v9, v9
	v_max_f32_e32 v8, v8, v9
	v_div_scale_f32 v9, s[4:5], v8, v8, s7
	v_div_scale_f32 v12, vcc, s7, v8, s7
	s_mul_i32 s4, s9, s0
	s_mul_hi_u32 s0, s9, s0
	s_mul_i32 s5, s0, s1
	s_mul_hi_u32 s11, s4, s1
	s_mul_i32 s0, s4, s1
	s_add_i32 s1, s11, s5
	s_ashr_i32 s9, s10, 31
	s_lshr_b64 s[4:5], s[0:1], 5
	s_lshr_b32 s0, s1, 5
	s_mul_i32 s5, s0, s8
	s_mul_hi_u32 s11, s4, s8
	s_add_i32 s5, s11, s5
	v_rcp_f32_e32 v15, v9
	s_mul_i32 s4, s4, s8
	s_mulk_i32 s5, 0x90
	s_movk_i32 s8, 0x90
	v_fma_f32 v16, -v9, v15, 1.0
	v_fmac_f32_e32 v15, v16, v15
	v_mul_f32_e32 v16, v12, v15
	v_fma_f32 v17, -v9, v16, v12
	v_fmac_f32_e32 v16, v17, v15
	v_fma_f32 v9, -v9, v16, v12
	v_div_fmas_f32 v15, v9, v15, v16
	v_add_f32_e32 v12, v0, v1
	v_add_f32_e32 v9, v12, v2
	;; [unrolled: 1-line block ×3, first 2 shown]
	ds_bpermute_b32 v16, v11, v9
	v_mul_lo_u32 v17, v14, s9
	v_mad_u64_u32 v[11:12], s[0:1], v14, s10, 0
	s_waitcnt lgkmcnt(0)
	v_add_f32_e32 v9, v9, v16
	ds_bpermute_b32 v13, v13, v9
	v_add3_u32 v5, v12, v17, v5
	s_waitcnt lgkmcnt(0)
	v_add_f32_e32 v9, v9, v13
	v_div_fixup_f32 v8, v15, v8, s7
	v_mul_f32_e32 v0, v0, v8
	v_trunc_f32_e32 v12, v0
	v_sub_f32_e32 v13, v0, v12
	v_cmp_ge_f32_e64 s[0:1], |v13|, 0.5
	v_cndmask_b32_e64 v13, 0, 1.0, s[0:1]
	s_brev_b32 s7, -2
	v_bfi_b32 v0, s7, v13, v0
	v_add_f32_e32 v0, v12, v0
	v_cvt_i32_f32_e32 v12, v0
	v_mul_f32_e32 v0, v1, v8
	v_trunc_f32_e32 v1, v0
	v_sub_f32_e32 v13, v0, v1
	v_cmp_ge_f32_e64 s[0:1], |v13|, 0.5
	v_cndmask_b32_e64 v13, 0, 1.0, s[0:1]
	v_bfi_b32 v0, s7, v13, v0
	v_add_f32_e32 v0, v1, v0
	v_cvt_i32_f32_sdwa v13, v0 dst_sel:BYTE_1 dst_unused:UNUSED_PAD src0_sel:DWORD
	v_mul_f32_e32 v0, v2, v8
	v_trunc_f32_e32 v1, v0
	v_sub_f32_e32 v2, v0, v1
	v_cmp_ge_f32_e64 s[0:1], |v2|, 0.5
	v_cndmask_b32_e64 v2, 0, 1.0, s[0:1]
	s_mul_hi_u32 s0, s4, 0x90
	v_bfi_b32 v0, s7, v2, v0
	s_add_i32 s1, s0, s5
	s_mulk_i32 s4, 0x90
	v_add_f32_e32 v0, v1, v0
	s_add_u32 s0, s2, s4
	v_cvt_i32_f32_e32 v14, v0
	s_addc_u32 s1, s3, s1
	v_mov_b32_e32 v0, s0
	v_mov_b32_e32 v1, s1
	v_mad_u64_u32 v[0:1], s[0:1], v11, s8, v[0:1]
	v_mul_f32_e32 v3, v3, v8
	v_trunc_f32_e32 v11, v3
	v_sub_f32_e32 v15, v3, v11
	v_mad_u64_u32 v[1:2], s[0:1], v5, s8, v[1:2]
	v_cmp_ge_f32_e64 s[0:1], |v15|, 0.5
	v_cndmask_b32_e64 v2, 0, 1.0, s[0:1]
	v_bfi_b32 v2, s7, v2, v3
	v_mov_b32_e32 v3, 0x90
	v_add_f32_e32 v2, v11, v2
	v_mad_u64_u32 v[0:1], s[0:1], s6, v3, v[0:1]
	v_cvt_i32_f32_sdwa v5, v2 dst_sel:BYTE_1 dst_unused:UNUSED_PAD src0_sel:DWORD
	ds_bpermute_b32 v10, v10, v9
	v_add_co_u32_e32 v2, vcc, v0, v7
	v_or_b32_sdwa v11, v12, v13 dst_sel:DWORD dst_unused:UNUSED_PAD src0_sel:BYTE_0 src1_sel:DWORD
	v_or_b32_sdwa v5, v14, v5 dst_sel:WORD_1 dst_unused:UNUSED_PAD src0_sel:BYTE_0 src1_sel:DWORD
	v_addc_co_u32_e32 v3, vcc, 0, v1, vcc
	v_or_b32_sdwa v11, v11, v5 dst_sel:DWORD dst_unused:UNUSED_PAD src0_sel:WORD_0 src1_sel:DWORD
	v_and_b32_e32 v5, 7, v4
	v_cmp_eq_u64_e32 vcc, 0, v[5:6]
	global_store_dword v[2:3], v11, off offset:16
	s_and_b64 exec, exec, vcc
	s_cbranch_execz .LBB7_7
; %bb.6:
	v_div_scale_f32 v2, s[0:1], v8, v8, 1.0
	v_div_scale_f32 v3, vcc, 1.0, v8, 1.0
	v_rcp_f32_e32 v4, v2
	v_fma_f32 v5, -v2, v4, 1.0
	v_fmac_f32_e32 v4, v5, v4
	v_mul_f32_e32 v5, v3, v4
	v_fma_f32 v6, -v2, v5, v3
	v_fmac_f32_e32 v5, v6, v4
	v_fma_f32 v2, -v2, v5, v3
	v_div_fmas_f32 v2, v2, v4, v5
	s_waitcnt lgkmcnt(0)
	v_add_f32_e32 v3, v9, v10
	v_cvt_f16_f32_sdwa v3, v3 dst_sel:WORD_1 dst_unused:UNUSED_PAD src0_sel:DWORD
	v_lshrrev_b32_e32 v4, 3, v7
	v_add_co_u32_e32 v0, vcc, v0, v4
	v_addc_co_u32_e32 v1, vcc, 0, v1, vcc
	v_div_fixup_f32 v2, v2, v8, 1.0
	v_cvt_f16_f32_e32 v2, v2
	v_or_b32_e32 v2, v3, v2
	global_store_dword v[0:1], v2, off
.LBB7_7:
	s_endpgm
	.section	.rodata,"a",@progbits
	.p2align	6, 0x0
	.amdhsa_kernel _ZL17quantize_mmq_q8_1IL18mmq_q8_1_ds_layout1EEvPKfPKiPvlllllii
		.amdhsa_group_segment_fixed_size 0
		.amdhsa_private_segment_fixed_size 0
		.amdhsa_kernarg_size 328
		.amdhsa_user_sgpr_count 6
		.amdhsa_user_sgpr_private_segment_buffer 1
		.amdhsa_user_sgpr_dispatch_ptr 0
		.amdhsa_user_sgpr_queue_ptr 0
		.amdhsa_user_sgpr_kernarg_segment_ptr 1
		.amdhsa_user_sgpr_dispatch_id 0
		.amdhsa_user_sgpr_flat_scratch_init 0
		.amdhsa_user_sgpr_private_segment_size 0
		.amdhsa_uses_dynamic_stack 0
		.amdhsa_system_sgpr_private_segment_wavefront_offset 0
		.amdhsa_system_sgpr_workgroup_id_x 1
		.amdhsa_system_sgpr_workgroup_id_y 1
		.amdhsa_system_sgpr_workgroup_id_z 1
		.amdhsa_system_sgpr_workgroup_info 0
		.amdhsa_system_vgpr_workitem_id 0
		.amdhsa_next_free_vgpr 18
		.amdhsa_next_free_sgpr 25
		.amdhsa_reserve_vcc 1
		.amdhsa_reserve_flat_scratch 0
		.amdhsa_float_round_mode_32 0
		.amdhsa_float_round_mode_16_64 0
		.amdhsa_float_denorm_mode_32 3
		.amdhsa_float_denorm_mode_16_64 3
		.amdhsa_dx10_clamp 1
		.amdhsa_ieee_mode 1
		.amdhsa_fp16_overflow 0
		.amdhsa_exception_fp_ieee_invalid_op 0
		.amdhsa_exception_fp_denorm_src 0
		.amdhsa_exception_fp_ieee_div_zero 0
		.amdhsa_exception_fp_ieee_overflow 0
		.amdhsa_exception_fp_ieee_underflow 0
		.amdhsa_exception_fp_ieee_inexact 0
		.amdhsa_exception_int_div_zero 0
	.end_amdhsa_kernel
	.section	.text._ZL17quantize_mmq_q8_1IL18mmq_q8_1_ds_layout1EEvPKfPKiPvlllllii,"axG",@progbits,_ZL17quantize_mmq_q8_1IL18mmq_q8_1_ds_layout1EEvPKfPKiPvlllllii,comdat
.Lfunc_end7:
	.size	_ZL17quantize_mmq_q8_1IL18mmq_q8_1_ds_layout1EEvPKfPKiPvlllllii, .Lfunc_end7-_ZL17quantize_mmq_q8_1IL18mmq_q8_1_ds_layout1EEvPKfPKiPvlllllii
                                        ; -- End function
	.set _ZL17quantize_mmq_q8_1IL18mmq_q8_1_ds_layout1EEvPKfPKiPvlllllii.num_vgpr, 18
	.set _ZL17quantize_mmq_q8_1IL18mmq_q8_1_ds_layout1EEvPKfPKiPvlllllii.num_agpr, 0
	.set _ZL17quantize_mmq_q8_1IL18mmq_q8_1_ds_layout1EEvPKfPKiPvlllllii.numbered_sgpr, 25
	.set _ZL17quantize_mmq_q8_1IL18mmq_q8_1_ds_layout1EEvPKfPKiPvlllllii.num_named_barrier, 0
	.set _ZL17quantize_mmq_q8_1IL18mmq_q8_1_ds_layout1EEvPKfPKiPvlllllii.private_seg_size, 0
	.set _ZL17quantize_mmq_q8_1IL18mmq_q8_1_ds_layout1EEvPKfPKiPvlllllii.uses_vcc, 1
	.set _ZL17quantize_mmq_q8_1IL18mmq_q8_1_ds_layout1EEvPKfPKiPvlllllii.uses_flat_scratch, 0
	.set _ZL17quantize_mmq_q8_1IL18mmq_q8_1_ds_layout1EEvPKfPKiPvlllllii.has_dyn_sized_stack, 0
	.set _ZL17quantize_mmq_q8_1IL18mmq_q8_1_ds_layout1EEvPKfPKiPvlllllii.has_recursion, 0
	.set _ZL17quantize_mmq_q8_1IL18mmq_q8_1_ds_layout1EEvPKfPKiPvlllllii.has_indirect_call, 0
	.section	.AMDGPU.csdata,"",@progbits
; Kernel info:
; codeLenInByte = 1256
; TotalNumSgprs: 29
; NumVgprs: 18
; ScratchSize: 0
; MemoryBound: 0
; FloatMode: 240
; IeeeMode: 1
; LDSByteSize: 0 bytes/workgroup (compile time only)
; SGPRBlocks: 3
; VGPRBlocks: 4
; NumSGPRsForWavesPerEU: 29
; NumVGPRsForWavesPerEU: 18
; Occupancy: 10
; WaveLimiterHint : 0
; COMPUTE_PGM_RSRC2:SCRATCH_EN: 0
; COMPUTE_PGM_RSRC2:USER_SGPR: 6
; COMPUTE_PGM_RSRC2:TRAP_HANDLER: 0
; COMPUTE_PGM_RSRC2:TGID_X_EN: 1
; COMPUTE_PGM_RSRC2:TGID_Y_EN: 1
; COMPUTE_PGM_RSRC2:TGID_Z_EN: 1
; COMPUTE_PGM_RSRC2:TIDIG_COMP_CNT: 0
	.section	.text._ZL17quantize_mmq_q8_1IL18mmq_q8_1_ds_layout2EEvPKfPKiPvlllllii,"axG",@progbits,_ZL17quantize_mmq_q8_1IL18mmq_q8_1_ds_layout2EEvPKfPKiPvlllllii,comdat
	.globl	_ZL17quantize_mmq_q8_1IL18mmq_q8_1_ds_layout2EEvPKfPKiPvlllllii ; -- Begin function _ZL17quantize_mmq_q8_1IL18mmq_q8_1_ds_layout2EEvPKfPKiPvlllllii
	.p2align	8
	.type	_ZL17quantize_mmq_q8_1IL18mmq_q8_1_ds_layout2EEvPKfPKiPvlllllii,@function
_ZL17quantize_mmq_q8_1IL18mmq_q8_1_ds_layout2EEvPKfPKiPvlllllii: ; @_ZL17quantize_mmq_q8_1IL18mmq_q8_1_ds_layout2EEvPKfPKiPvlllllii
; %bb.0:
	s_load_dword s0, s[4:5], 0x54
	s_add_u32 s22, s4, 0x48
	s_addc_u32 s23, s5, 0
	v_mov_b32_e32 v1, 0
	v_mov_b32_e32 v2, s7
	s_waitcnt lgkmcnt(0)
	s_and_b32 s9, s0, 0xffff
	v_mad_u64_u32 v[4:5], s[0:1], s9, v2, v[0:1]
	s_load_dwordx2 s[0:1], s[4:5], 0x38
	v_lshlrev_b64 v[7:8], 2, v[4:5]
	s_waitcnt lgkmcnt(0)
	v_cmp_gt_i64_e32 vcc, s[0:1], v[7:8]
	s_and_saveexec_b64 s[0:1], vcc
	s_cbranch_execz .LBB8_8
; %bb.1:
	s_load_dwordx2 s[10:11], s[4:5], 0x40
	s_load_dwordx4 s[0:3], s[4:5], 0x8
	s_load_dwordx8 s[12:19], s[4:5], 0x18
	s_mov_b32 s7, 0
	s_mov_b64 s[20:21], s[6:7]
	s_waitcnt lgkmcnt(0)
	v_cvt_f32_u32_e32 v0, s11
	s_cmp_eq_u64 s[0:1], 0
	v_rcp_iflag_f32_e32 v0, v0
	v_mul_f32_e32 v0, 0x4f7ffffe, v0
	v_cvt_u32_f32_e32 v0, v0
	v_readfirstlane_b32 s24, v0
	s_cbranch_scc1 .LBB8_3
; %bb.2:
	s_lshl_b64 s[20:21], s[6:7], 2
	s_add_u32 s0, s0, s20
	s_addc_u32 s1, s1, s21
	s_load_dword s20, s[0:1], 0x0
	s_waitcnt lgkmcnt(0)
	s_ashr_i32 s21, s20, 31
.LBB8_3:
	s_load_dwordx2 s[0:1], s[22:23], 0x0
	v_cmp_gt_i64_e32 vcc, s[12:13], v[7:8]
	v_mov_b32_e32 v6, 0
	v_mov_b32_e32 v0, 0
	;; [unrolled: 1-line block ×5, first 2 shown]
	s_and_saveexec_b64 s[12:13], vcc
	s_cbranch_execz .LBB8_5
; %bb.4:
	s_sub_i32 s7, 0, s11
	s_mul_i32 s7, s7, s24
	s_mul_hi_u32 s7, s24, s7
	s_add_i32 s24, s24, s7
	s_mul_hi_u32 s7, s8, s24
	s_mul_i32 s22, s7, s11
	s_sub_i32 s22, s8, s22
	s_add_i32 s23, s7, 1
	s_sub_i32 s24, s22, s11
	s_cmp_ge_u32 s22, s11
	s_cselect_b32 s7, s23, s7
	s_cselect_b32 s22, s24, s22
	s_add_i32 s23, s7, 1
	s_cmp_ge_u32 s22, s11
	s_cselect_b32 s7, s23, s7
	s_mul_i32 s11, s7, s11
	s_sub_i32 s11, s8, s11
	v_mov_b32_e32 v0, s11
	v_mad_u64_u32 v[0:1], s[22:23], s16, v0, v[7:8]
	s_mul_i32 s11, s17, s11
	v_mov_b32_e32 v2, s7
	v_add_u32_e32 v1, s11, v1
	v_mad_u64_u32 v[0:1], s[16:17], s18, v2, v[0:1]
	s_mul_i32 s7, s19, s7
	v_mov_b32_e32 v2, s14
	v_add_u32_e32 v1, s7, v1
	v_mad_u64_u32 v[0:1], s[16:17], s20, v2, v[0:1]
	s_mul_i32 s7, s21, s14
	s_mul_i32 s11, s20, s15
	s_add_i32 s11, s11, s7
	v_add_u32_e32 v1, s11, v1
	v_ashrrev_i32_e32 v2, 31, v1
	v_lshrrev_b32_e32 v2, 30, v2
	s_load_dwordx2 s[4:5], s[4:5], 0x0
	v_add_co_u32_e32 v0, vcc, v0, v2
	v_addc_co_u32_e32 v1, vcc, 0, v1, vcc
	v_lshlrev_b64 v[0:1], 2, v[0:1]
	s_waitcnt lgkmcnt(0)
	v_mov_b32_e32 v2, s5
	v_and_b32_e32 v0, -16, v0
	v_add_co_u32_e32 v0, vcc, s4, v0
	v_addc_co_u32_e32 v1, vcc, v2, v1, vcc
	global_load_dwordx4 v[0:3], v[0:1], off
.LBB8_5:
	s_or_b64 exec, exec, s[12:13]
	s_waitcnt vmcnt(0)
	v_max_f32_e64 v8, |v1|, |v1|
	v_max_f32_e64 v9, |v0|, |v0|
	v_max_f32_e32 v8, v9, v8
	v_mbcnt_lo_u32_b32 v9, -1, 0
	v_mbcnt_hi_u32_b32 v9, -1, v9
	v_and_b32_e32 v10, 0x60, v9
	v_add_u32_e32 v10, 32, v10
	v_xor_b32_e32 v11, 8, v9
	v_cmp_lt_i32_e32 vcc, v11, v10
	v_cndmask_b32_e32 v11, v9, v11, vcc
	v_max3_f32 v8, v8, |v2|, |v3|
	v_lshlrev_b32_e32 v11, 2, v11
	ds_bpermute_b32 v11, v11, v8
	s_mov_b32 s7, 0x42fe0000
	s_waitcnt lgkmcnt(0)
	v_max_f32_e32 v11, v11, v11
	v_max_f32_e32 v8, v8, v11
	v_xor_b32_e32 v11, 4, v9
	v_cmp_lt_i32_e32 vcc, v11, v10
	v_cndmask_b32_e32 v11, v9, v11, vcc
	v_lshlrev_b32_e32 v11, 2, v11
	ds_bpermute_b32 v11, v11, v8
	s_waitcnt lgkmcnt(0)
	v_max_f32_e32 v11, v11, v11
	v_max_f32_e32 v8, v8, v11
	v_xor_b32_e32 v11, 2, v9
	v_cmp_lt_i32_e32 vcc, v11, v10
	v_cndmask_b32_e32 v11, v9, v11, vcc
	v_lshlrev_b32_e32 v12, 2, v11
	ds_bpermute_b32 v11, v12, v8
	;; [unrolled: 8-line block ×3, first 2 shown]
	v_alignbit_b32 v11, v5, v4, 5
	v_lshrrev_b32_e32 v5, 5, v5
	v_mul_lo_u32 v5, v5, s10
	s_waitcnt lgkmcnt(0)
	v_max_f32_e32 v10, v10, v10
	v_max_f32_e32 v13, v8, v10
	v_div_scale_f32 v8, s[4:5], v13, v13, s7
	v_div_scale_f32 v10, vcc, s7, v13, s7
	s_mul_i32 s4, s9, s0
	s_mul_hi_u32 s0, s9, s0
	s_mul_i32 s5, s0, s1
	s_mul_hi_u32 s11, s4, s1
	s_mul_i32 s0, s4, s1
	s_add_i32 s1, s11, s5
	s_ashr_i32 s9, s10, 31
	s_lshr_b64 s[4:5], s[0:1], 5
	s_lshr_b32 s0, s1, 5
	s_mul_i32 s5, s0, s8
	s_mul_hi_u32 s11, s4, s8
	s_add_i32 s5, s11, s5
	v_rcp_f32_e32 v14, v8
	s_mul_i32 s4, s4, s8
	s_mulk_i32 s5, 0x90
	s_movk_i32 s8, 0x90
	v_fma_f32 v15, -v8, v14, 1.0
	v_fmac_f32_e32 v14, v15, v14
	v_mul_f32_e32 v15, v10, v14
	v_fma_f32 v16, -v8, v15, v10
	v_fmac_f32_e32 v15, v16, v14
	v_fma_f32 v8, -v8, v15, v10
	v_div_fmas_f32 v14, v8, v14, v15
	v_add_f32_e32 v15, v0, v1
	v_add_f32_e32 v15, v15, v2
	v_mul_lo_u32 v8, v11, s9
	v_mad_u64_u32 v[10:11], s[0:1], v11, s10, 0
	v_add_f32_e32 v15, v15, v3
	ds_bpermute_b32 v12, v12, v15
	v_add3_u32 v11, v11, v8, v5
	v_and_b32_e32 v5, 0x7c, v7
	s_waitcnt lgkmcnt(0)
	v_add_f32_e32 v8, v15, v12
	ds_bpermute_b32 v9, v9, v8
	v_div_fixup_f32 v7, v14, v13, s7
	v_mul_f32_e32 v0, v0, v7
	v_trunc_f32_e32 v12, v0
	v_sub_f32_e32 v13, v0, v12
	v_cmp_ge_f32_e64 s[0:1], |v13|, 0.5
	v_cndmask_b32_e64 v13, 0, 1.0, s[0:1]
	s_brev_b32 s7, -2
	v_bfi_b32 v0, s7, v13, v0
	v_add_f32_e32 v0, v12, v0
	v_cvt_i32_f32_e32 v12, v0
	v_mul_f32_e32 v0, v1, v7
	v_trunc_f32_e32 v1, v0
	v_sub_f32_e32 v13, v0, v1
	v_cmp_ge_f32_e64 s[0:1], |v13|, 0.5
	v_cndmask_b32_e64 v13, 0, 1.0, s[0:1]
	v_bfi_b32 v0, s7, v13, v0
	v_add_f32_e32 v0, v1, v0
	v_cvt_i32_f32_sdwa v13, v0 dst_sel:BYTE_1 dst_unused:UNUSED_PAD src0_sel:DWORD
	v_mul_f32_e32 v0, v2, v7
	v_trunc_f32_e32 v1, v0
	v_sub_f32_e32 v2, v0, v1
	v_cmp_ge_f32_e64 s[0:1], |v2|, 0.5
	v_cndmask_b32_e64 v2, 0, 1.0, s[0:1]
	s_mul_hi_u32 s0, s4, 0x90
	v_bfi_b32 v0, s7, v2, v0
	s_add_i32 s1, s0, s5
	s_mulk_i32 s4, 0x90
	v_add_f32_e32 v0, v1, v0
	s_add_u32 s0, s2, s4
	v_cvt_i32_f32_e32 v14, v0
	s_addc_u32 s1, s3, s1
	v_mov_b32_e32 v0, s0
	v_mov_b32_e32 v1, s1
	v_mad_u64_u32 v[0:1], s[0:1], v10, s8, v[0:1]
	v_mul_f32_e32 v3, v3, v7
	v_trunc_f32_e32 v10, v3
	v_sub_f32_e32 v15, v3, v10
	v_mad_u64_u32 v[1:2], s[0:1], v11, s8, v[1:2]
	v_cmp_ge_f32_e64 s[0:1], |v15|, 0.5
	v_cndmask_b32_e64 v2, 0, 1.0, s[0:1]
	v_bfi_b32 v2, s7, v2, v3
	v_mov_b32_e32 v3, 0x90
	v_add_f32_e32 v2, v10, v2
	v_mad_u64_u32 v[0:1], s[0:1], s6, v3, v[0:1]
	v_cvt_i32_f32_sdwa v10, v2 dst_sel:BYTE_1 dst_unused:UNUSED_PAD src0_sel:DWORD
	v_or_b32_sdwa v11, v12, v13 dst_sel:DWORD dst_unused:UNUSED_PAD src0_sel:BYTE_0 src1_sel:DWORD
	v_add_co_u32_e32 v2, vcc, v0, v5
	v_or_b32_sdwa v10, v14, v10 dst_sel:WORD_1 dst_unused:UNUSED_PAD src0_sel:BYTE_0 src1_sel:DWORD
	v_addc_co_u32_e32 v3, vcc, 0, v1, vcc
	v_or_b32_sdwa v12, v11, v10 dst_sel:DWORD dst_unused:UNUSED_PAD src0_sel:WORD_0 src1_sel:DWORD
	v_and_b32_e32 v10, 3, v4
	v_mov_b32_e32 v11, v6
	s_mov_b64 s[0:1], 0x60
	v_cmp_eq_u64_e32 vcc, 0, v[10:11]
	v_cmp_gt_u64_e64 s[0:1], s[0:1], v[5:6]
	global_store_dword v[2:3], v12, off offset:16
	s_and_b64 s[0:1], vcc, s[0:1]
	s_and_b64 exec, exec, s[0:1]
	s_cbranch_execz .LBB8_8
; %bb.6:
	s_waitcnt lgkmcnt(0)
	v_add_f32_e32 v2, v8, v9
	v_lshrrev_b32_e32 v6, 3, v5
	v_cvt_f16_f32_e32 v10, v2
	v_add_co_u32_e32 v8, vcc, v0, v6
	v_mov_b32_e32 v3, 0
	v_addc_co_u32_e32 v9, vcc, 0, v1, vcc
	v_and_b32_e32 v2, 12, v4
	v_cmp_eq_u64_e32 vcc, 0, v[2:3]
	global_store_short v[8:9], v10, off offset:4
	s_and_b64 exec, exec, vcc
	s_cbranch_execz .LBB8_8
; %bb.7:
	v_div_scale_f32 v2, s[0:1], v7, v7, 1.0
	v_div_scale_f32 v3, vcc, 1.0, v7, 1.0
	v_rcp_f32_e32 v4, v2
	v_fma_f32 v6, -v2, v4, 1.0
	v_fmac_f32_e32 v4, v6, v4
	v_mul_f32_e32 v6, v3, v4
	v_fma_f32 v8, -v2, v6, v3
	v_fmac_f32_e32 v6, v8, v4
	v_fma_f32 v2, -v2, v6, v3
	v_div_fmas_f32 v2, v2, v4, v6
	v_lshrrev_b32_e32 v3, 5, v5
	v_add_co_u32_e32 v0, vcc, v0, v3
	v_addc_co_u32_e32 v1, vcc, 0, v1, vcc
	v_div_fixup_f32 v2, v2, v7, 1.0
	v_cvt_f16_f32_e32 v2, v2
	global_store_short v[0:1], v2, off
.LBB8_8:
	s_endpgm
	.section	.rodata,"a",@progbits
	.p2align	6, 0x0
	.amdhsa_kernel _ZL17quantize_mmq_q8_1IL18mmq_q8_1_ds_layout2EEvPKfPKiPvlllllii
		.amdhsa_group_segment_fixed_size 0
		.amdhsa_private_segment_fixed_size 0
		.amdhsa_kernarg_size 328
		.amdhsa_user_sgpr_count 6
		.amdhsa_user_sgpr_private_segment_buffer 1
		.amdhsa_user_sgpr_dispatch_ptr 0
		.amdhsa_user_sgpr_queue_ptr 0
		.amdhsa_user_sgpr_kernarg_segment_ptr 1
		.amdhsa_user_sgpr_dispatch_id 0
		.amdhsa_user_sgpr_flat_scratch_init 0
		.amdhsa_user_sgpr_private_segment_size 0
		.amdhsa_uses_dynamic_stack 0
		.amdhsa_system_sgpr_private_segment_wavefront_offset 0
		.amdhsa_system_sgpr_workgroup_id_x 1
		.amdhsa_system_sgpr_workgroup_id_y 1
		.amdhsa_system_sgpr_workgroup_id_z 1
		.amdhsa_system_sgpr_workgroup_info 0
		.amdhsa_system_vgpr_workitem_id 0
		.amdhsa_next_free_vgpr 17
		.amdhsa_next_free_sgpr 25
		.amdhsa_reserve_vcc 1
		.amdhsa_reserve_flat_scratch 0
		.amdhsa_float_round_mode_32 0
		.amdhsa_float_round_mode_16_64 0
		.amdhsa_float_denorm_mode_32 3
		.amdhsa_float_denorm_mode_16_64 3
		.amdhsa_dx10_clamp 1
		.amdhsa_ieee_mode 1
		.amdhsa_fp16_overflow 0
		.amdhsa_exception_fp_ieee_invalid_op 0
		.amdhsa_exception_fp_denorm_src 0
		.amdhsa_exception_fp_ieee_div_zero 0
		.amdhsa_exception_fp_ieee_overflow 0
		.amdhsa_exception_fp_ieee_underflow 0
		.amdhsa_exception_fp_ieee_inexact 0
		.amdhsa_exception_int_div_zero 0
	.end_amdhsa_kernel
	.section	.text._ZL17quantize_mmq_q8_1IL18mmq_q8_1_ds_layout2EEvPKfPKiPvlllllii,"axG",@progbits,_ZL17quantize_mmq_q8_1IL18mmq_q8_1_ds_layout2EEvPKfPKiPvlllllii,comdat
.Lfunc_end8:
	.size	_ZL17quantize_mmq_q8_1IL18mmq_q8_1_ds_layout2EEvPKfPKiPvlllllii, .Lfunc_end8-_ZL17quantize_mmq_q8_1IL18mmq_q8_1_ds_layout2EEvPKfPKiPvlllllii
                                        ; -- End function
	.set _ZL17quantize_mmq_q8_1IL18mmq_q8_1_ds_layout2EEvPKfPKiPvlllllii.num_vgpr, 17
	.set _ZL17quantize_mmq_q8_1IL18mmq_q8_1_ds_layout2EEvPKfPKiPvlllllii.num_agpr, 0
	.set _ZL17quantize_mmq_q8_1IL18mmq_q8_1_ds_layout2EEvPKfPKiPvlllllii.numbered_sgpr, 25
	.set _ZL17quantize_mmq_q8_1IL18mmq_q8_1_ds_layout2EEvPKfPKiPvlllllii.num_named_barrier, 0
	.set _ZL17quantize_mmq_q8_1IL18mmq_q8_1_ds_layout2EEvPKfPKiPvlllllii.private_seg_size, 0
	.set _ZL17quantize_mmq_q8_1IL18mmq_q8_1_ds_layout2EEvPKfPKiPvlllllii.uses_vcc, 1
	.set _ZL17quantize_mmq_q8_1IL18mmq_q8_1_ds_layout2EEvPKfPKiPvlllllii.uses_flat_scratch, 0
	.set _ZL17quantize_mmq_q8_1IL18mmq_q8_1_ds_layout2EEvPKfPKiPvlllllii.has_dyn_sized_stack, 0
	.set _ZL17quantize_mmq_q8_1IL18mmq_q8_1_ds_layout2EEvPKfPKiPvlllllii.has_recursion, 0
	.set _ZL17quantize_mmq_q8_1IL18mmq_q8_1_ds_layout2EEvPKfPKiPvlllllii.has_indirect_call, 0
	.section	.AMDGPU.csdata,"",@progbits
; Kernel info:
; codeLenInByte = 1332
; TotalNumSgprs: 29
; NumVgprs: 17
; ScratchSize: 0
; MemoryBound: 0
; FloatMode: 240
; IeeeMode: 1
; LDSByteSize: 0 bytes/workgroup (compile time only)
; SGPRBlocks: 3
; VGPRBlocks: 4
; NumSGPRsForWavesPerEU: 29
; NumVGPRsForWavesPerEU: 17
; Occupancy: 10
; WaveLimiterHint : 0
; COMPUTE_PGM_RSRC2:SCRATCH_EN: 0
; COMPUTE_PGM_RSRC2:USER_SGPR: 6
; COMPUTE_PGM_RSRC2:TRAP_HANDLER: 0
; COMPUTE_PGM_RSRC2:TGID_X_EN: 1
; COMPUTE_PGM_RSRC2:TGID_Y_EN: 1
; COMPUTE_PGM_RSRC2:TGID_Z_EN: 1
; COMPUTE_PGM_RSRC2:TIDIG_COMP_CNT: 0
	.section	.AMDGPU.gpr_maximums,"",@progbits
	.set amdgpu.max_num_vgpr, 41
	.set amdgpu.max_num_agpr, 0
	.set amdgpu.max_num_sgpr, 34
	.section	.AMDGPU.csdata,"",@progbits
	.type	.str,@object                    ; @.str
	.section	.rodata.str1.1,"aMS",@progbits,1
.str:
	.asciz	"/root/src/amdgpu-assembly/repos/ggml-org__llama.cpp/ggml/src/ggml-cuda/quantize.cu"
	.size	.str, 83

	.type	__FUNCTION__._ZL18quantize_mmq_nvfp4PKfPKiPvlllllll,@object ; @__FUNCTION__._ZL18quantize_mmq_nvfp4PKfPKiPvlllllll
__FUNCTION__._ZL18quantize_mmq_nvfp4PKfPKiPvlllllll:
	.asciz	"quantize_mmq_nvfp4"
	.size	__FUNCTION__._ZL18quantize_mmq_nvfp4PKfPKiPvlllllll, 19

	.type	.str.2,@object                  ; @.str.2
.str.2:
	.asciz	"%s:%d: ERROR: HIP kernel %s has no device code compatible with HIP arch %d.\n"
	.size	.str.2, 77

	.type	__hip_cuid_2437c87e35f3703d,@object ; @__hip_cuid_2437c87e35f3703d
	.section	.bss,"aw",@nobits
	.globl	__hip_cuid_2437c87e35f3703d
__hip_cuid_2437c87e35f3703d:
	.byte	0                               ; 0x0
	.size	__hip_cuid_2437c87e35f3703d, 1

	.ident	"AMD clang version 22.0.0git (https://github.com/RadeonOpenCompute/llvm-project roc-7.2.4 26084 f58b06dce1f9c15707c5f808fd002e18c2accf7e)"
	.section	".note.GNU-stack","",@progbits
	.addrsig
	.addrsig_sym __hip_cuid_2437c87e35f3703d
	.amdgpu_metadata
---
amdhsa.kernels:
  - .args:
      - .address_space:  global
        .offset:         0
        .size:           8
        .value_kind:     global_buffer
      - .address_space:  global
        .offset:         8
        .size:           8
        .value_kind:     global_buffer
      - .offset:         16
        .size:           8
        .value_kind:     by_value
      - .offset:         24
        .size:           8
        .value_kind:     by_value
      - .offset:         32
        .size:           8
        .value_kind:     by_value
      - .offset:         40
        .size:           8
        .value_kind:     by_value
      - .offset:         48
        .size:           8
        .value_kind:     by_value
      - .offset:         56
        .size:           4
        .value_kind:     by_value
      - .offset:         60
        .size:           12
        .value_kind:     by_value
      - .offset:         72
        .size:           4
        .value_kind:     hidden_block_count_x
      - .offset:         76
        .size:           4
        .value_kind:     hidden_block_count_y
      - .offset:         80
        .size:           4
        .value_kind:     hidden_block_count_z
      - .offset:         84
        .size:           2
        .value_kind:     hidden_group_size_x
      - .offset:         86
        .size:           2
        .value_kind:     hidden_group_size_y
      - .offset:         88
        .size:           2
        .value_kind:     hidden_group_size_z
      - .offset:         90
        .size:           2
        .value_kind:     hidden_remainder_x
      - .offset:         92
        .size:           2
        .value_kind:     hidden_remainder_y
      - .offset:         94
        .size:           2
        .value_kind:     hidden_remainder_z
      - .offset:         112
        .size:           8
        .value_kind:     hidden_global_offset_x
      - .offset:         120
        .size:           8
        .value_kind:     hidden_global_offset_y
      - .offset:         128
        .size:           8
        .value_kind:     hidden_global_offset_z
      - .offset:         136
        .size:           2
        .value_kind:     hidden_grid_dims
    .group_segment_fixed_size: 0
    .kernarg_segment_align: 8
    .kernarg_segment_size: 328
    .language:       OpenCL C
    .language_version:
      - 2
      - 0
    .max_flat_workgroup_size: 256
    .name:           _ZL13quantize_q8_1PKfPvlllllj15HIP_vector_typeIjLj3EE
    .private_segment_fixed_size: 0
    .sgpr_count:     28
    .sgpr_spill_count: 0
    .symbol:         _ZL13quantize_q8_1PKfPvlllllj15HIP_vector_typeIjLj3EE.kd
    .uniform_work_group_size: 1
    .uses_dynamic_stack: false
    .vgpr_count:     13
    .vgpr_spill_count: 0
    .wavefront_size: 64
  - .args:
      - .actual_access:  read_only
        .address_space:  global
        .offset:         0
        .size:           8
        .value_kind:     global_buffer
      - .actual_access:  read_only
        .address_space:  global
        .offset:         8
        .size:           8
        .value_kind:     global_buffer
      - .actual_access:  read_only
        .address_space:  global
        .offset:         16
        .size:           8
        .value_kind:     global_buffer
      - .offset:         24
        .size:           8
        .value_kind:     by_value
      - .offset:         32
        .size:           8
        .value_kind:     by_value
      - .offset:         40
        .size:           8
        .value_kind:     by_value
      - .offset:         48
        .size:           8
        .value_kind:     by_value
      - .offset:         56
        .size:           8
        .value_kind:     by_value
      - .offset:         64
        .size:           8
        .value_kind:     by_value
      - .offset:         72
        .size:           8
        .value_kind:     by_value
      - .offset:         80
        .size:           4
        .value_kind:     hidden_block_count_x
      - .offset:         84
        .size:           4
        .value_kind:     hidden_block_count_y
      - .offset:         88
        .size:           4
        .value_kind:     hidden_block_count_z
      - .offset:         92
        .size:           2
        .value_kind:     hidden_group_size_x
      - .offset:         94
        .size:           2
        .value_kind:     hidden_group_size_y
      - .offset:         96
        .size:           2
        .value_kind:     hidden_group_size_z
      - .offset:         98
        .size:           2
        .value_kind:     hidden_remainder_x
      - .offset:         100
        .size:           2
        .value_kind:     hidden_remainder_y
      - .offset:         102
        .size:           2
        .value_kind:     hidden_remainder_z
      - .offset:         120
        .size:           8
        .value_kind:     hidden_global_offset_x
      - .offset:         128
        .size:           8
        .value_kind:     hidden_global_offset_y
      - .offset:         136
        .size:           8
        .value_kind:     hidden_global_offset_z
      - .offset:         144
        .size:           2
        .value_kind:     hidden_grid_dims
      - .offset:         160
        .size:           8
        .value_kind:     hidden_hostcall_buffer
    .group_segment_fixed_size: 0
    .kernarg_segment_align: 8
    .kernarg_segment_size: 336
    .language:       OpenCL C
    .language_version:
      - 2
      - 0
    .max_flat_workgroup_size: 1024
    .name:           _ZL18quantize_mmq_nvfp4PKfPKiPvlllllll
    .private_segment_fixed_size: 16
    .sgpr_count:     38
    .sgpr_spill_count: 0
    .symbol:         _ZL18quantize_mmq_nvfp4PKfPKiPvlllllll.kd
    .uniform_work_group_size: 1
    .uses_dynamic_stack: false
    .vgpr_count:     41
    .vgpr_spill_count: 0
    .wavefront_size: 64
  - .args:
      - .actual_access:  read_only
        .address_space:  global
        .offset:         0
        .size:           8
        .value_kind:     global_buffer
      - .actual_access:  read_only
        .address_space:  global
        .offset:         8
        .size:           8
        .value_kind:     global_buffer
      - .actual_access:  write_only
        .address_space:  global
        .offset:         16
        .size:           8
        .value_kind:     global_buffer
      - .offset:         24
        .size:           8
        .value_kind:     by_value
      - .offset:         32
        .size:           8
        .value_kind:     by_value
      - .offset:         40
        .size:           8
        .value_kind:     by_value
      - .offset:         48
        .size:           8
        .value_kind:     by_value
      - .offset:         56
        .size:           8
        .value_kind:     by_value
      - .offset:         64
        .size:           4
        .value_kind:     by_value
      - .offset:         68
        .size:           4
        .value_kind:     by_value
      - .offset:         72
        .size:           4
        .value_kind:     hidden_block_count_x
      - .offset:         76
        .size:           4
        .value_kind:     hidden_block_count_y
      - .offset:         80
        .size:           4
        .value_kind:     hidden_block_count_z
      - .offset:         84
        .size:           2
        .value_kind:     hidden_group_size_x
      - .offset:         86
        .size:           2
        .value_kind:     hidden_group_size_y
      - .offset:         88
        .size:           2
        .value_kind:     hidden_group_size_z
      - .offset:         90
        .size:           2
        .value_kind:     hidden_remainder_x
      - .offset:         92
        .size:           2
        .value_kind:     hidden_remainder_y
      - .offset:         94
        .size:           2
        .value_kind:     hidden_remainder_z
      - .offset:         112
        .size:           8
        .value_kind:     hidden_global_offset_x
      - .offset:         120
        .size:           8
        .value_kind:     hidden_global_offset_y
      - .offset:         128
        .size:           8
        .value_kind:     hidden_global_offset_z
      - .offset:         136
        .size:           2
        .value_kind:     hidden_grid_dims
    .group_segment_fixed_size: 0
    .kernarg_segment_align: 8
    .kernarg_segment_size: 328
    .language:       OpenCL C
    .language_version:
      - 2
      - 0
    .max_flat_workgroup_size: 1024
    .name:           _ZL18quantize_mmq_mxfp4PKfPKiPvlllllii
    .private_segment_fixed_size: 0
    .sgpr_count:     28
    .sgpr_spill_count: 0
    .symbol:         _ZL18quantize_mmq_mxfp4PKfPKiPvlllllii.kd
    .uniform_work_group_size: 1
    .uses_dynamic_stack: false
    .vgpr_count:     23
    .vgpr_spill_count: 0
    .wavefront_size: 64
  - .args:
      - .actual_access:  read_only
        .address_space:  global
        .offset:         0
        .size:           8
        .value_kind:     global_buffer
      - .actual_access:  read_only
        .address_space:  global
        .offset:         8
        .size:           8
        .value_kind:     global_buffer
      - .actual_access:  write_only
        .address_space:  global
        .offset:         16
        .size:           8
        .value_kind:     global_buffer
      - .offset:         24
        .size:           8
        .value_kind:     by_value
      - .offset:         32
        .size:           8
        .value_kind:     by_value
      - .offset:         40
        .size:           8
        .value_kind:     by_value
      - .offset:         48
        .size:           8
        .value_kind:     by_value
      - .offset:         56
        .size:           8
        .value_kind:     by_value
      - .offset:         64
        .size:           4
        .value_kind:     by_value
      - .offset:         68
        .size:           4
        .value_kind:     by_value
      - .offset:         72
        .size:           4
        .value_kind:     hidden_block_count_x
      - .offset:         76
        .size:           4
        .value_kind:     hidden_block_count_y
      - .offset:         80
        .size:           4
        .value_kind:     hidden_block_count_z
      - .offset:         84
        .size:           2
        .value_kind:     hidden_group_size_x
      - .offset:         86
        .size:           2
        .value_kind:     hidden_group_size_y
      - .offset:         88
        .size:           2
        .value_kind:     hidden_group_size_z
      - .offset:         90
        .size:           2
        .value_kind:     hidden_remainder_x
      - .offset:         92
        .size:           2
        .value_kind:     hidden_remainder_y
      - .offset:         94
        .size:           2
        .value_kind:     hidden_remainder_z
      - .offset:         112
        .size:           8
        .value_kind:     hidden_global_offset_x
      - .offset:         120
        .size:           8
        .value_kind:     hidden_global_offset_y
      - .offset:         128
        .size:           8
        .value_kind:     hidden_global_offset_z
      - .offset:         136
        .size:           2
        .value_kind:     hidden_grid_dims
    .group_segment_fixed_size: 0
    .kernarg_segment_align: 8
    .kernarg_segment_size: 328
    .language:       OpenCL C
    .language_version:
      - 2
      - 0
    .max_flat_workgroup_size: 1024
    .name:           _ZL17quantize_mmq_q8_1IL18mmq_q8_1_ds_layout0EEvPKfPKiPvlllllii
    .private_segment_fixed_size: 0
    .sgpr_count:     29
    .sgpr_spill_count: 0
    .symbol:         _ZL17quantize_mmq_q8_1IL18mmq_q8_1_ds_layout0EEvPKfPKiPvlllllii.kd
    .uniform_work_group_size: 1
    .uses_dynamic_stack: false
    .vgpr_count:     15
    .vgpr_spill_count: 0
    .wavefront_size: 64
  - .args:
      - .actual_access:  read_only
        .address_space:  global
        .offset:         0
        .size:           8
        .value_kind:     global_buffer
      - .actual_access:  read_only
        .address_space:  global
        .offset:         8
        .size:           8
        .value_kind:     global_buffer
      - .actual_access:  write_only
        .address_space:  global
        .offset:         16
        .size:           8
        .value_kind:     global_buffer
      - .offset:         24
        .size:           8
        .value_kind:     by_value
      - .offset:         32
        .size:           8
        .value_kind:     by_value
      - .offset:         40
        .size:           8
        .value_kind:     by_value
      - .offset:         48
        .size:           8
        .value_kind:     by_value
      - .offset:         56
        .size:           8
        .value_kind:     by_value
      - .offset:         64
        .size:           4
        .value_kind:     by_value
      - .offset:         68
        .size:           4
        .value_kind:     by_value
      - .offset:         72
        .size:           4
        .value_kind:     hidden_block_count_x
      - .offset:         76
        .size:           4
        .value_kind:     hidden_block_count_y
      - .offset:         80
        .size:           4
        .value_kind:     hidden_block_count_z
      - .offset:         84
        .size:           2
        .value_kind:     hidden_group_size_x
      - .offset:         86
        .size:           2
        .value_kind:     hidden_group_size_y
      - .offset:         88
        .size:           2
        .value_kind:     hidden_group_size_z
      - .offset:         90
        .size:           2
        .value_kind:     hidden_remainder_x
      - .offset:         92
        .size:           2
        .value_kind:     hidden_remainder_y
      - .offset:         94
        .size:           2
        .value_kind:     hidden_remainder_z
      - .offset:         112
        .size:           8
        .value_kind:     hidden_global_offset_x
      - .offset:         120
        .size:           8
        .value_kind:     hidden_global_offset_y
      - .offset:         128
        .size:           8
        .value_kind:     hidden_global_offset_z
      - .offset:         136
        .size:           2
        .value_kind:     hidden_grid_dims
    .group_segment_fixed_size: 0
    .kernarg_segment_align: 8
    .kernarg_segment_size: 328
    .language:       OpenCL C
    .language_version:
      - 2
      - 0
    .max_flat_workgroup_size: 1024
    .name:           _ZL17quantize_mmq_q8_1IL18mmq_q8_1_ds_layout1EEvPKfPKiPvlllllii
    .private_segment_fixed_size: 0
    .sgpr_count:     29
    .sgpr_spill_count: 0
    .symbol:         _ZL17quantize_mmq_q8_1IL18mmq_q8_1_ds_layout1EEvPKfPKiPvlllllii.kd
    .uniform_work_group_size: 1
    .uses_dynamic_stack: false
    .vgpr_count:     18
    .vgpr_spill_count: 0
    .wavefront_size: 64
  - .args:
      - .actual_access:  read_only
        .address_space:  global
        .offset:         0
        .size:           8
        .value_kind:     global_buffer
      - .actual_access:  read_only
        .address_space:  global
        .offset:         8
        .size:           8
        .value_kind:     global_buffer
      - .actual_access:  write_only
        .address_space:  global
        .offset:         16
        .size:           8
        .value_kind:     global_buffer
      - .offset:         24
        .size:           8
        .value_kind:     by_value
      - .offset:         32
        .size:           8
        .value_kind:     by_value
      - .offset:         40
        .size:           8
        .value_kind:     by_value
      - .offset:         48
        .size:           8
        .value_kind:     by_value
      - .offset:         56
        .size:           8
        .value_kind:     by_value
      - .offset:         64
        .size:           4
        .value_kind:     by_value
      - .offset:         68
        .size:           4
        .value_kind:     by_value
      - .offset:         72
        .size:           4
        .value_kind:     hidden_block_count_x
      - .offset:         76
        .size:           4
        .value_kind:     hidden_block_count_y
      - .offset:         80
        .size:           4
        .value_kind:     hidden_block_count_z
      - .offset:         84
        .size:           2
        .value_kind:     hidden_group_size_x
      - .offset:         86
        .size:           2
        .value_kind:     hidden_group_size_y
      - .offset:         88
        .size:           2
        .value_kind:     hidden_group_size_z
      - .offset:         90
        .size:           2
        .value_kind:     hidden_remainder_x
      - .offset:         92
        .size:           2
        .value_kind:     hidden_remainder_y
      - .offset:         94
        .size:           2
        .value_kind:     hidden_remainder_z
      - .offset:         112
        .size:           8
        .value_kind:     hidden_global_offset_x
      - .offset:         120
        .size:           8
        .value_kind:     hidden_global_offset_y
      - .offset:         128
        .size:           8
        .value_kind:     hidden_global_offset_z
      - .offset:         136
        .size:           2
        .value_kind:     hidden_grid_dims
    .group_segment_fixed_size: 0
    .kernarg_segment_align: 8
    .kernarg_segment_size: 328
    .language:       OpenCL C
    .language_version:
      - 2
      - 0
    .max_flat_workgroup_size: 1024
    .name:           _ZL17quantize_mmq_q8_1IL18mmq_q8_1_ds_layout2EEvPKfPKiPvlllllii
    .private_segment_fixed_size: 0
    .sgpr_count:     29
    .sgpr_spill_count: 0
    .symbol:         _ZL17quantize_mmq_q8_1IL18mmq_q8_1_ds_layout2EEvPKfPKiPvlllllii.kd
    .uniform_work_group_size: 1
    .uses_dynamic_stack: false
    .vgpr_count:     17
    .vgpr_spill_count: 0
    .wavefront_size: 64
amdhsa.target:   amdgcn-amd-amdhsa--gfx906
amdhsa.version:
  - 1
  - 2
...

	.end_amdgpu_metadata
